;; amdgpu-corpus repo=ROCm/rocFFT kind=compiled arch=gfx906 opt=O3
	.text
	.amdgcn_target "amdgcn-amd-amdhsa--gfx906"
	.amdhsa_code_object_version 6
	.protected	fft_rtc_fwd_len924_factors_2_2_3_7_11_wgs_44_tpt_44_halfLds_sp_ip_CI_sbrr_dirReg ; -- Begin function fft_rtc_fwd_len924_factors_2_2_3_7_11_wgs_44_tpt_44_halfLds_sp_ip_CI_sbrr_dirReg
	.globl	fft_rtc_fwd_len924_factors_2_2_3_7_11_wgs_44_tpt_44_halfLds_sp_ip_CI_sbrr_dirReg
	.p2align	8
	.type	fft_rtc_fwd_len924_factors_2_2_3_7_11_wgs_44_tpt_44_halfLds_sp_ip_CI_sbrr_dirReg,@function
fft_rtc_fwd_len924_factors_2_2_3_7_11_wgs_44_tpt_44_halfLds_sp_ip_CI_sbrr_dirReg: ; @fft_rtc_fwd_len924_factors_2_2_3_7_11_wgs_44_tpt_44_halfLds_sp_ip_CI_sbrr_dirReg
; %bb.0:
	s_load_dwordx2 s[14:15], s[4:5], 0x18
	s_load_dwordx4 s[8:11], s[4:5], 0x0
	s_load_dwordx2 s[12:13], s[4:5], 0x50
	v_mul_u32_u24_e32 v1, 0x5d2, v0
	v_add_u32_sdwa v5, s6, v1 dst_sel:DWORD dst_unused:UNUSED_PAD src0_sel:DWORD src1_sel:WORD_1
	s_waitcnt lgkmcnt(0)
	s_load_dwordx2 s[2:3], s[14:15], 0x0
	v_cmp_lt_u64_e64 s[0:1], s[10:11], 2
	v_mov_b32_e32 v3, 0
	v_mov_b32_e32 v1, 0
	;; [unrolled: 1-line block ×3, first 2 shown]
	s_and_b64 vcc, exec, s[0:1]
	v_mov_b32_e32 v2, 0
	s_cbranch_vccnz .LBB0_8
; %bb.1:
	s_load_dwordx2 s[0:1], s[4:5], 0x10
	s_add_u32 s6, s14, 8
	s_addc_u32 s7, s15, 0
	v_mov_b32_e32 v1, 0
	v_mov_b32_e32 v2, 0
	s_waitcnt lgkmcnt(0)
	s_add_u32 s16, s0, 8
	s_addc_u32 s17, s1, 0
	s_mov_b64 s[18:19], 1
.LBB0_2:                                ; =>This Inner Loop Header: Depth=1
	s_load_dwordx2 s[20:21], s[16:17], 0x0
                                        ; implicit-def: $vgpr7_vgpr8
	s_waitcnt lgkmcnt(0)
	v_or_b32_e32 v4, s21, v6
	v_cmp_ne_u64_e32 vcc, 0, v[3:4]
	s_and_saveexec_b64 s[0:1], vcc
	s_xor_b64 s[22:23], exec, s[0:1]
	s_cbranch_execz .LBB0_4
; %bb.3:                                ;   in Loop: Header=BB0_2 Depth=1
	v_cvt_f32_u32_e32 v4, s20
	v_cvt_f32_u32_e32 v7, s21
	s_sub_u32 s0, 0, s20
	s_subb_u32 s1, 0, s21
	v_mac_f32_e32 v4, 0x4f800000, v7
	v_rcp_f32_e32 v4, v4
	v_mul_f32_e32 v4, 0x5f7ffffc, v4
	v_mul_f32_e32 v7, 0x2f800000, v4
	v_trunc_f32_e32 v7, v7
	v_mac_f32_e32 v4, 0xcf800000, v7
	v_cvt_u32_f32_e32 v7, v7
	v_cvt_u32_f32_e32 v4, v4
	v_mul_lo_u32 v8, s0, v7
	v_mul_hi_u32 v9, s0, v4
	v_mul_lo_u32 v11, s1, v4
	v_mul_lo_u32 v10, s0, v4
	v_add_u32_e32 v8, v9, v8
	v_add_u32_e32 v8, v8, v11
	v_mul_hi_u32 v9, v4, v10
	v_mul_lo_u32 v11, v4, v8
	v_mul_hi_u32 v13, v4, v8
	v_mul_hi_u32 v12, v7, v10
	v_mul_lo_u32 v10, v7, v10
	v_mul_hi_u32 v14, v7, v8
	v_add_co_u32_e32 v9, vcc, v9, v11
	v_addc_co_u32_e32 v11, vcc, 0, v13, vcc
	v_mul_lo_u32 v8, v7, v8
	v_add_co_u32_e32 v9, vcc, v9, v10
	v_addc_co_u32_e32 v9, vcc, v11, v12, vcc
	v_addc_co_u32_e32 v10, vcc, 0, v14, vcc
	v_add_co_u32_e32 v8, vcc, v9, v8
	v_addc_co_u32_e32 v9, vcc, 0, v10, vcc
	v_add_co_u32_e32 v4, vcc, v4, v8
	v_addc_co_u32_e32 v7, vcc, v7, v9, vcc
	v_mul_lo_u32 v8, s0, v7
	v_mul_hi_u32 v9, s0, v4
	v_mul_lo_u32 v10, s1, v4
	v_mul_lo_u32 v11, s0, v4
	v_add_u32_e32 v8, v9, v8
	v_add_u32_e32 v8, v8, v10
	v_mul_lo_u32 v12, v4, v8
	v_mul_hi_u32 v13, v4, v11
	v_mul_hi_u32 v14, v4, v8
	;; [unrolled: 1-line block ×3, first 2 shown]
	v_mul_lo_u32 v11, v7, v11
	v_mul_hi_u32 v9, v7, v8
	v_add_co_u32_e32 v12, vcc, v13, v12
	v_addc_co_u32_e32 v13, vcc, 0, v14, vcc
	v_mul_lo_u32 v8, v7, v8
	v_add_co_u32_e32 v11, vcc, v12, v11
	v_addc_co_u32_e32 v10, vcc, v13, v10, vcc
	v_addc_co_u32_e32 v9, vcc, 0, v9, vcc
	v_add_co_u32_e32 v8, vcc, v10, v8
	v_addc_co_u32_e32 v9, vcc, 0, v9, vcc
	v_add_co_u32_e32 v4, vcc, v4, v8
	v_addc_co_u32_e32 v9, vcc, v7, v9, vcc
	v_mad_u64_u32 v[7:8], s[0:1], v5, v9, 0
	v_mul_hi_u32 v10, v5, v4
	v_add_co_u32_e32 v11, vcc, v10, v7
	v_addc_co_u32_e32 v12, vcc, 0, v8, vcc
	v_mad_u64_u32 v[7:8], s[0:1], v6, v4, 0
	v_mad_u64_u32 v[9:10], s[0:1], v6, v9, 0
	v_add_co_u32_e32 v4, vcc, v11, v7
	v_addc_co_u32_e32 v4, vcc, v12, v8, vcc
	v_addc_co_u32_e32 v7, vcc, 0, v10, vcc
	v_add_co_u32_e32 v4, vcc, v4, v9
	v_addc_co_u32_e32 v9, vcc, 0, v7, vcc
	v_mul_lo_u32 v10, s21, v4
	v_mul_lo_u32 v11, s20, v9
	v_mad_u64_u32 v[7:8], s[0:1], s20, v4, 0
	v_add3_u32 v8, v8, v11, v10
	v_sub_u32_e32 v10, v6, v8
	v_mov_b32_e32 v11, s21
	v_sub_co_u32_e32 v7, vcc, v5, v7
	v_subb_co_u32_e64 v10, s[0:1], v10, v11, vcc
	v_subrev_co_u32_e64 v11, s[0:1], s20, v7
	v_subbrev_co_u32_e64 v10, s[0:1], 0, v10, s[0:1]
	v_cmp_le_u32_e64 s[0:1], s21, v10
	v_cndmask_b32_e64 v12, 0, -1, s[0:1]
	v_cmp_le_u32_e64 s[0:1], s20, v11
	v_cndmask_b32_e64 v11, 0, -1, s[0:1]
	v_cmp_eq_u32_e64 s[0:1], s21, v10
	v_cndmask_b32_e64 v10, v12, v11, s[0:1]
	v_add_co_u32_e64 v11, s[0:1], 2, v4
	v_addc_co_u32_e64 v12, s[0:1], 0, v9, s[0:1]
	v_add_co_u32_e64 v13, s[0:1], 1, v4
	v_addc_co_u32_e64 v14, s[0:1], 0, v9, s[0:1]
	v_subb_co_u32_e32 v8, vcc, v6, v8, vcc
	v_cmp_ne_u32_e64 s[0:1], 0, v10
	v_cmp_le_u32_e32 vcc, s21, v8
	v_cndmask_b32_e64 v10, v14, v12, s[0:1]
	v_cndmask_b32_e64 v12, 0, -1, vcc
	v_cmp_le_u32_e32 vcc, s20, v7
	v_cndmask_b32_e64 v7, 0, -1, vcc
	v_cmp_eq_u32_e32 vcc, s21, v8
	v_cndmask_b32_e32 v7, v12, v7, vcc
	v_cmp_ne_u32_e32 vcc, 0, v7
	v_cndmask_b32_e64 v7, v13, v11, s[0:1]
	v_cndmask_b32_e32 v8, v9, v10, vcc
	v_cndmask_b32_e32 v7, v4, v7, vcc
.LBB0_4:                                ;   in Loop: Header=BB0_2 Depth=1
	s_andn2_saveexec_b64 s[0:1], s[22:23]
	s_cbranch_execz .LBB0_6
; %bb.5:                                ;   in Loop: Header=BB0_2 Depth=1
	v_cvt_f32_u32_e32 v4, s20
	s_sub_i32 s22, 0, s20
	v_rcp_iflag_f32_e32 v4, v4
	v_mul_f32_e32 v4, 0x4f7ffffe, v4
	v_cvt_u32_f32_e32 v4, v4
	v_mul_lo_u32 v7, s22, v4
	v_mul_hi_u32 v7, v4, v7
	v_add_u32_e32 v4, v4, v7
	v_mul_hi_u32 v4, v5, v4
	v_mul_lo_u32 v7, v4, s20
	v_add_u32_e32 v8, 1, v4
	v_sub_u32_e32 v7, v5, v7
	v_subrev_u32_e32 v9, s20, v7
	v_cmp_le_u32_e32 vcc, s20, v7
	v_cndmask_b32_e32 v7, v7, v9, vcc
	v_cndmask_b32_e32 v4, v4, v8, vcc
	v_add_u32_e32 v8, 1, v4
	v_cmp_le_u32_e32 vcc, s20, v7
	v_cndmask_b32_e32 v7, v4, v8, vcc
	v_mov_b32_e32 v8, v3
.LBB0_6:                                ;   in Loop: Header=BB0_2 Depth=1
	s_or_b64 exec, exec, s[0:1]
	v_mul_lo_u32 v4, v8, s20
	v_mul_lo_u32 v11, v7, s21
	v_mad_u64_u32 v[9:10], s[0:1], v7, s20, 0
	s_load_dwordx2 s[0:1], s[6:7], 0x0
	s_add_u32 s18, s18, 1
	v_add3_u32 v4, v10, v11, v4
	v_sub_co_u32_e32 v5, vcc, v5, v9
	v_subb_co_u32_e32 v4, vcc, v6, v4, vcc
	s_waitcnt lgkmcnt(0)
	v_mul_lo_u32 v4, s0, v4
	v_mul_lo_u32 v6, s1, v5
	v_mad_u64_u32 v[1:2], s[0:1], s0, v5, v[1:2]
	s_addc_u32 s19, s19, 0
	s_add_u32 s6, s6, 8
	v_add3_u32 v2, v6, v2, v4
	v_mov_b32_e32 v4, s10
	v_mov_b32_e32 v5, s11
	s_addc_u32 s7, s7, 0
	v_cmp_ge_u64_e32 vcc, s[18:19], v[4:5]
	s_add_u32 s16, s16, 8
	s_addc_u32 s17, s17, 0
	s_cbranch_vccnz .LBB0_9
; %bb.7:                                ;   in Loop: Header=BB0_2 Depth=1
	v_mov_b32_e32 v5, v7
	v_mov_b32_e32 v6, v8
	s_branch .LBB0_2
.LBB0_8:
	v_mov_b32_e32 v8, v6
	v_mov_b32_e32 v7, v5
.LBB0_9:
	s_lshl_b64 s[0:1], s[10:11], 3
	s_add_u32 s0, s14, s0
	s_addc_u32 s1, s15, s1
	s_load_dwordx2 s[6:7], s[0:1], 0x0
	s_load_dwordx2 s[10:11], s[4:5], 0x20
                                        ; implicit-def: $vgpr57
                                        ; implicit-def: $vgpr58
                                        ; implicit-def: $vgpr59
                                        ; implicit-def: $vgpr61
                                        ; implicit-def: $vgpr62
                                        ; implicit-def: $vgpr63
                                        ; implicit-def: $vgpr64
                                        ; implicit-def: $vgpr65
                                        ; implicit-def: $vgpr66
	s_waitcnt lgkmcnt(0)
	v_mad_u64_u32 v[1:2], s[0:1], s6, v7, v[1:2]
	s_mov_b32 s0, 0x5d1745e
	v_mul_lo_u32 v3, s6, v8
	v_mul_lo_u32 v4, s7, v7
	v_mul_hi_u32 v5, v0, s0
	v_cmp_gt_u64_e32 vcc, s[10:11], v[7:8]
	v_cmp_le_u64_e64 s[0:1], s[10:11], v[7:8]
	v_add3_u32 v2, v4, v2, v3
	v_mul_u32_u24_e32 v3, 44, v5
	v_sub_u32_e32 v56, v0, v3
                                        ; implicit-def: $sgpr6
	s_and_saveexec_b64 s[4:5], s[0:1]
	s_xor_b64 s[0:1], exec, s[4:5]
; %bb.10:
	v_add_u32_e32 v57, 44, v56
	v_add_u32_e32 v58, 0x58, v56
	;; [unrolled: 1-line block ×9, first 2 shown]
	s_mov_b32 s6, 0
; %bb.11:
	s_or_saveexec_b64 s[4:5], s[0:1]
	v_lshlrev_b64 v[0:1], 3, v[1:2]
	v_mov_b32_e32 v19, s6
	v_mov_b32_e32 v18, s6
                                        ; implicit-def: $vgpr3
                                        ; implicit-def: $vgpr5
                                        ; implicit-def: $vgpr7
                                        ; implicit-def: $vgpr9
                                        ; implicit-def: $vgpr11
                                        ; implicit-def: $vgpr13
                                        ; implicit-def: $vgpr15
                                        ; implicit-def: $vgpr17
                                        ; implicit-def: $vgpr21
                                        ; implicit-def: $vgpr25
                                        ; implicit-def: $vgpr23
                                        ; implicit-def: $vgpr29
                                        ; implicit-def: $vgpr27
                                        ; implicit-def: $vgpr33
                                        ; implicit-def: $vgpr31
                                        ; implicit-def: $vgpr38
                                        ; implicit-def: $vgpr36
                                        ; implicit-def: $vgpr40
                                        ; implicit-def: $vgpr53
                                        ; implicit-def: $vgpr44
                                        ; implicit-def: $vgpr42
	s_xor_b64 exec, exec, s[4:5]
	s_cbranch_execz .LBB0_15
; %bb.12:
	v_mad_u64_u32 v[2:3], s[0:1], s2, v56, 0
	v_add_u32_e32 v7, 0x1ce, v56
	v_mov_b32_e32 v6, s13
	v_mad_u64_u32 v[3:4], s[0:1], s3, v56, v[3:4]
	v_mad_u64_u32 v[4:5], s[0:1], s2, v7, 0
	v_add_co_u32_e64 v34, s[0:1], s12, v0
	v_addc_co_u32_e64 v45, s[0:1], v6, v1, s[0:1]
	v_mad_u64_u32 v[5:6], s[0:1], s3, v7, v[5:6]
	v_add_u32_e32 v57, 44, v56
	v_mad_u64_u32 v[6:7], s[0:1], s2, v57, 0
	v_lshlrev_b64 v[2:3], 3, v[2:3]
	v_add_u32_e32 v58, 0x58, v56
	v_add_co_u32_e64 v18, s[0:1], v34, v2
	v_addc_co_u32_e64 v19, s[0:1], v45, v3, s[0:1]
	v_lshlrev_b64 v[2:3], 3, v[4:5]
	v_mov_b32_e32 v4, v7
	v_mad_u64_u32 v[4:5], s[0:1], s3, v57, v[4:5]
	v_add_u32_e32 v5, 0x1fa, v56
	v_mad_u64_u32 v[8:9], s[0:1], s2, v5, 0
	v_add_co_u32_e64 v35, s[0:1], v34, v2
	v_mov_b32_e32 v7, v4
	v_mov_b32_e32 v4, v9
	v_addc_co_u32_e64 v36, s[0:1], v45, v3, s[0:1]
	v_mad_u64_u32 v[4:5], s[0:1], s3, v5, v[4:5]
	v_lshlrev_b64 v[2:3], 3, v[6:7]
	v_mad_u64_u32 v[5:6], s[0:1], s2, v58, 0
	v_add_co_u32_e64 v37, s[0:1], v34, v2
	v_mov_b32_e32 v9, v4
	v_mov_b32_e32 v4, v6
	v_addc_co_u32_e64 v38, s[0:1], v45, v3, s[0:1]
	v_lshlrev_b64 v[2:3], 3, v[8:9]
	v_mad_u64_u32 v[6:7], s[0:1], s3, v58, v[4:5]
	v_add_u32_e32 v9, 0x226, v56
	v_mad_u64_u32 v[7:8], s[0:1], s2, v9, 0
	v_add_co_u32_e64 v39, s[0:1], v34, v2
	v_mov_b32_e32 v4, v8
	v_addc_co_u32_e64 v40, s[0:1], v45, v3, s[0:1]
	v_lshlrev_b64 v[2:3], 3, v[5:6]
	v_mad_u64_u32 v[4:5], s[0:1], s3, v9, v[4:5]
	v_add_u32_e32 v59, 0x84, v56
	v_mad_u64_u32 v[5:6], s[0:1], s2, v59, 0
	v_add_co_u32_e64 v41, s[0:1], v34, v2
	v_mov_b32_e32 v8, v4
	v_mov_b32_e32 v4, v6
	v_addc_co_u32_e64 v42, s[0:1], v45, v3, s[0:1]
	v_lshlrev_b64 v[2:3], 3, v[7:8]
	v_mad_u64_u32 v[6:7], s[0:1], s3, v59, v[4:5]
	v_add_u32_e32 v9, 0x252, v56
	v_mad_u64_u32 v[7:8], s[0:1], s2, v9, 0
	v_add_co_u32_e64 v43, s[0:1], v34, v2
	v_mov_b32_e32 v4, v8
	v_addc_co_u32_e64 v44, s[0:1], v45, v3, s[0:1]
	v_lshlrev_b64 v[2:3], 3, v[5:6]
	v_mad_u64_u32 v[4:5], s[0:1], s3, v9, v[4:5]
	v_add_u32_e32 v61, 0xb0, v56
	;; [unrolled: 15-line block ×7, first 2 shown]
	v_mad_u64_u32 v[5:6], s[0:1], s2, v66, 0
	v_add_co_u32_e64 v77, s[0:1], v34, v2
	v_mov_b32_e32 v8, v4
	v_mov_b32_e32 v4, v6
	v_addc_co_u32_e64 v78, s[0:1], v45, v3, s[0:1]
	v_lshlrev_b64 v[2:3], 3, v[7:8]
	v_mad_u64_u32 v[6:7], s[0:1], s3, v66, v[4:5]
	v_add_u32_e32 v9, 0x35a, v56
	v_mad_u64_u32 v[7:8], s[0:1], s2, v9, 0
	v_add_co_u32_e64 v79, s[0:1], v34, v2
	v_mov_b32_e32 v4, v8
	v_addc_co_u32_e64 v80, s[0:1], v45, v3, s[0:1]
	v_lshlrev_b64 v[2:3], 3, v[5:6]
	v_mad_u64_u32 v[4:5], s[0:1], s3, v9, v[4:5]
	v_add_co_u32_e64 v81, s[0:1], v34, v2
	v_mov_b32_e32 v8, v4
	v_addc_co_u32_e64 v82, s[0:1], v45, v3, s[0:1]
	v_lshlrev_b64 v[2:3], 3, v[7:8]
	v_add_co_u32_e64 v83, s[0:1], v34, v2
	v_addc_co_u32_e64 v84, s[0:1], v45, v3, s[0:1]
	global_load_dwordx2 v[2:3], v[18:19], off
	global_load_dwordx2 v[4:5], v[35:36], off
	;; [unrolled: 1-line block ×15, first 2 shown]
                                        ; kill: killed $vgpr48 killed $vgpr49
                                        ; kill: killed $vgpr18 killed $vgpr19
                                        ; kill: killed $vgpr50 killed $vgpr51
                                        ; kill: killed $vgpr43 killed $vgpr44
                                        ; kill: killed $vgpr71 killed $vgpr72
                                        ; kill: killed $vgpr46 killed $vgpr47
                                        ; kill: killed $vgpr73 killed $vgpr74
                                        ; kill: killed $vgpr39 killed $vgpr40
                                        ; kill: killed $vgpr67 killed $vgpr68
                                        ; kill: killed $vgpr41 killed $vgpr42
                                        ; kill: killed $vgpr69 killed $vgpr70
                                        ; kill: killed $vgpr35 killed $vgpr36
                                        ; kill: killed $vgpr52 killed $vgpr53
                                        ; kill: killed $vgpr37 killed $vgpr38
                                        ; kill: killed $vgpr54 killed $vgpr55
	global_load_dwordx2 v[37:38], v[75:76], off
	global_load_dwordx2 v[35:36], v[77:78], off
	;; [unrolled: 1-line block ×5, first 2 shown]
	v_cmp_gt_u32_e64 s[0:1], 22, v56
	v_mov_b32_e32 v18, 0
	v_mov_b32_e32 v19, 0
                                        ; implicit-def: $vgpr52
	s_and_saveexec_b64 s[6:7], s[0:1]
	s_cbranch_execz .LBB0_14
; %bb.13:
	v_add_u32_e32 v48, 0x1b8, v56
	v_mad_u64_u32 v[18:19], s[0:1], s2, v48, 0
	v_add_u32_e32 v50, 0x386, v56
	v_mad_u64_u32 v[46:47], s[0:1], s2, v50, 0
	s_waitcnt vmcnt(11)
	v_mad_u64_u32 v[48:49], s[0:1], s3, v48, v[19:20]
	v_mov_b32_e32 v19, v48
	v_mad_u64_u32 v[47:48], s[0:1], s3, v50, v[47:48]
	v_lshlrev_b64 v[18:19], 3, v[18:19]
	v_add_co_u32_e64 v48, s[0:1], v34, v18
	v_addc_co_u32_e64 v49, s[0:1], v45, v19, s[0:1]
	v_lshlrev_b64 v[18:19], 3, v[46:47]
	v_add_co_u32_e64 v46, s[0:1], v34, v18
	v_addc_co_u32_e64 v47, s[0:1], v45, v19, s[0:1]
	global_load_dwordx2 v[18:19], v[48:49], off
	global_load_dwordx2 v[52:53], v[46:47], off
.LBB0_14:
	s_or_b64 exec, exec, s[6:7]
.LBB0_15:
	s_or_b64 exec, exec, s[4:5]
	s_waitcnt vmcnt(18)
	v_sub_f32_e32 v46, v2, v4
	v_fma_f32 v45, v2, 2.0, -v46
	v_lshl_add_u32 v72, v56, 3, 0
	s_waitcnt vmcnt(16)
	v_sub_f32_e32 v48, v6, v8
	ds_write_b64 v72, v[45:46]
	s_waitcnt vmcnt(14)
	v_sub_f32_e32 v46, v10, v12
	v_fma_f32 v47, v6, 2.0, -v48
	v_fma_f32 v45, v10, 2.0, -v46
	v_lshl_add_u32 v10, v57, 3, 0
	v_lshl_add_u32 v2, v58, 3, 0
	ds_write_b64 v10, v[47:48]
	ds_write_b64 v2, v[45:46]
	s_waitcnt vmcnt(12)
	v_sub_f32_e32 v46, v14, v16
	v_fma_f32 v45, v14, 2.0, -v46
	v_lshl_add_u32 v6, v59, 3, 0
	ds_write_b64 v6, v[45:46]
	s_waitcnt vmcnt(10)
	v_sub_f32_e32 v46, v20, v24
	v_fma_f32 v45, v20, 2.0, -v46
	v_lshl_add_u32 v8, v61, 3, 0
	;; [unrolled: 5-line block ×5, first 2 shown]
	ds_write_b64 v32, v[45:46]
	s_waitcnt vmcnt(2)
	v_sub_f32_e32 v46, v35, v41
	v_fma_f32 v45, v35, 2.0, -v46
	s_waitcnt vmcnt(0)
	v_sub_f32_e32 v35, v39, v43
	v_lshl_add_u32 v16, v65, 3, 0
	v_fma_f32 v34, v39, 2.0, -v35
	v_lshl_add_u32 v71, v66, 3, 0
	ds_write_b64 v16, v[45:46]
	ds_write_b64 v71, v[34:35]
	v_sub_f32_e32 v35, v18, v52
	v_add_u32_e32 v20, 0x1b8, v56
	v_fma_f32 v34, v18, 2.0, -v35
	v_cmp_gt_u32_e64 s[0:1], 22, v56
	v_lshl_add_u32 v12, v20, 3, 0
	s_and_saveexec_b64 s[4:5], s[0:1]
	s_cbranch_execz .LBB0_17
; %bb.16:
	ds_write_b64 v12, v[34:35]
.LBB0_17:
	s_or_b64 exec, exec, s[4:5]
	v_lshl_add_u32 v43, v56, 2, 0
	v_add_u32_e32 v4, 0x400, v43
	s_waitcnt lgkmcnt(0)
	; wave barrier
	s_waitcnt lgkmcnt(0)
	ds_read2_b32 v[45:46], v4 offset0:206 offset1:250
	v_lshlrev_b32_e32 v4, 2, v58
	v_add_u32_e32 v24, 0x800, v43
	v_lshlrev_b32_e32 v18, 2, v59
	v_lshlrev_b32_e32 v28, 2, v61
	;; [unrolled: 1-line block ×3, first 2 shown]
	v_sub_u32_e32 v30, v2, v4
	ds_read2_b32 v[47:48], v24 offset0:38 offset1:82
	v_sub_u32_e32 v37, v6, v18
	v_sub_u32_e32 v39, v8, v28
	ds_read2_b32 v[49:50], v24 offset0:126 offset1:170
	v_sub_u32_e32 v41, v14, v73
	v_lshlrev_b32_e32 v74, 2, v63
	v_add_u32_e32 v24, 0xa00, v43
	v_lshlrev_b32_e32 v75, 2, v64
	v_lshl_add_u32 v60, v57, 2, 0
	v_sub_u32_e32 v54, v22, v74
	ds_read2_b32 v[51:52], v24 offset0:86 offset1:130
	v_sub_u32_e32 v55, v32, v75
	ds_read_b32 v24, v43
	ds_read_b32 v26, v60
	;; [unrolled: 1-line block ×8, first 2 shown]
	v_lshlrev_b32_e32 v76, 2, v65
	v_lshlrev_b32_e32 v82, 2, v66
	v_sub_u32_e32 v69, v16, v76
	v_add_u32_e32 v54, 0xc00, v43
	v_sub_u32_e32 v70, v71, v82
	ds_read2_b32 v[54:55], v54 offset0:46 offset1:90
	ds_read_b32 v69, v69
	ds_read_b32 v70, v70
	s_and_saveexec_b64 s[4:5], s[0:1]
	s_cbranch_execz .LBB0_19
; %bb.18:
	ds_read_b32 v34, v43 offset:1760
	ds_read_b32 v35, v43 offset:3608
.LBB0_19:
	s_or_b64 exec, exec, s[4:5]
	v_sub_u32_e32 v79, 0, v74
	v_sub_f32_e32 v74, v3, v5
	v_sub_f32_e32 v5, v19, v53
	v_sub_u32_e32 v81, 0, v4
	v_sub_u32_e32 v18, 0, v18
	v_sub_u32_e32 v28, 0, v28
	v_sub_u32_e32 v80, 0, v73
	v_sub_u32_e32 v78, 0, v75
	v_sub_u32_e32 v77, 0, v76
	v_sub_u32_e32 v76, 0, v82
	v_fma_f32 v73, v3, 2.0, -v74
	v_sub_f32_e32 v83, v7, v9
	v_sub_f32_e32 v85, v11, v13
	;; [unrolled: 1-line block ×9, first 2 shown]
	v_fma_f32 v4, v19, 2.0, -v5
	v_fma_f32 v82, v7, 2.0, -v83
	;; [unrolled: 1-line block ×10, first 2 shown]
	s_waitcnt lgkmcnt(0)
	; wave barrier
	s_waitcnt lgkmcnt(0)
	ds_write_b64 v72, v[73:74]
	ds_write_b64 v10, v[82:83]
	ds_write_b64 v2, v[84:85]
	ds_write_b64 v6, v[86:87]
	ds_write_b64 v8, v[88:89]
	ds_write_b64 v14, v[90:91]
	ds_write_b64 v22, v[92:93]
	ds_write_b64 v32, v[94:95]
	ds_write_b64 v16, v[96:97]
	ds_write_b64 v71, v[98:99]
	s_and_saveexec_b64 s[4:5], s[0:1]
	s_cbranch_execz .LBB0_21
; %bb.20:
	ds_write_b64 v12, v[4:5]
.LBB0_21:
	s_or_b64 exec, exec, s[4:5]
	v_add_u32_e32 v7, 0x400, v43
	s_waitcnt lgkmcnt(0)
	; wave barrier
	s_waitcnt lgkmcnt(0)
	ds_read2_b32 v[12:13], v7 offset0:206 offset1:250
	v_add_u32_e32 v7, 0x800, v43
	v_add_u32_e32 v28, v8, v28
	;; [unrolled: 1-line block ×4, first 2 shown]
	ds_read2_b32 v[10:11], v7 offset0:38 offset1:82
	v_add_u32_e32 v18, v6, v18
	ds_read2_b32 v[6:7], v7 offset0:126 offset1:170
	v_add_u32_e32 v29, v14, v80
	v_add_u32_e32 v19, v22, v79
	ds_read2_b32 v[8:9], v8 offset0:86 offset1:130
	v_add_u32_e32 v32, v32, v78
	ds_read_b32 v44, v43
	ds_read_b32 v42, v60
	;; [unrolled: 1-line block ×8, first 2 shown]
	v_add_u32_e32 v16, v16, v77
	v_add_u32_e32 v14, 0xc00, v43
	ds_read2_b32 v[14:15], v14 offset0:46 offset1:90
	v_add_u32_e32 v22, v71, v76
	ds_read_b32 v38, v16
	ds_read_b32 v31, v22
	v_lshlrev_b32_e32 v3, 1, v56
	v_lshlrev_b32_e32 v53, 1, v57
	;; [unrolled: 1-line block ×10, first 2 shown]
	s_and_saveexec_b64 s[4:5], s[0:1]
	s_cbranch_execz .LBB0_23
; %bb.22:
	ds_read_b32 v4, v43 offset:1760
	ds_read_b32 v5, v43 offset:3608
.LBB0_23:
	s_or_b64 exec, exec, s[4:5]
	v_and_b32_e32 v36, 1, v56
	v_lshlrev_b32_e32 v16, 3, v36
	global_load_dwordx2 v[16:17], v16, s[8:9]
	s_movk_i32 s4, 0x7c
	s_movk_i32 s5, 0xfc
	;; [unrolled: 1-line block ×5, first 2 shown]
	v_and_or_b32 v3, v3, s4, v36
	v_and_or_b32 v66, v53, s5, v36
	;; [unrolled: 1-line block ×10, first 2 shown]
	v_lshl_add_u32 v53, v3, 2, 0
	v_lshl_add_u32 v64, v66, 2, 0
	;; [unrolled: 1-line block ×10, first 2 shown]
	s_waitcnt lgkmcnt(0)
	; wave barrier
	s_waitcnt vmcnt(0) lgkmcnt(0)
	v_mul_f32_e32 v3, v12, v17
	v_mul_f32_e32 v79, v11, v17
	;; [unrolled: 1-line block ×10, first 2 shown]
	v_fma_f32 v3, v45, v16, -v3
	v_fma_f32 v79, v48, v16, -v79
	v_mul_f32_e32 v86, v5, v17
	v_fma_f32 v77, v46, v16, -v77
	v_fma_f32 v78, v47, v16, -v78
	;; [unrolled: 1-line block ×8, first 2 shown]
	v_sub_f32_e32 v87, v24, v3
	v_sub_f32_e32 v79, v37, v79
	v_fma_f32 v86, v35, v16, -v86
	v_sub_f32_e32 v77, v26, v77
	v_sub_f32_e32 v78, v30, v78
	;; [unrolled: 1-line block ×8, first 2 shown]
	v_fma_f32 v24, v24, 2.0, -v87
	v_fma_f32 v37, v37, 2.0, -v79
	v_sub_f32_e32 v3, v34, v86
	v_fma_f32 v26, v26, 2.0, -v77
	v_fma_f32 v30, v30, 2.0, -v78
	;; [unrolled: 1-line block ×8, first 2 shown]
	ds_write2_b32 v53, v24, v87 offset1:2
	ds_write2_b32 v64, v26, v77 offset1:2
	;; [unrolled: 1-line block ×10, first 2 shown]
	v_lshlrev_b32_e32 v37, 1, v20
	s_and_saveexec_b64 s[4:5], s[0:1]
	s_cbranch_execz .LBB0_25
; %bb.24:
	v_and_or_b32 v20, v37, s6, v36
	v_lshl_add_u32 v20, v20, 2, 0
	v_fma_f32 v24, v34, 2.0, -v3
	ds_write2_b32 v20, v24, v3 offset1:2
.LBB0_25:
	s_or_b64 exec, exec, s[4:5]
	v_mul_f32_e32 v20, v45, v17
	v_fmac_f32_e32 v20, v12, v16
	v_mul_f32_e32 v12, v46, v17
	v_fmac_f32_e32 v12, v13, v16
	;; [unrolled: 2-line block ×10, first 2 shown]
	v_mul_f32_e32 v15, v35, v17
	v_sub_f32_e32 v52, v23, v7
	v_sub_f32_e32 v55, v21, v8
	v_fmac_f32_e32 v15, v5, v16
	v_sub_f32_e32 v39, v44, v20
	v_sub_f32_e32 v46, v33, v10
	;; [unrolled: 1-line block ×4, first 2 shown]
	v_fma_f32 v54, v23, 2.0, -v52
	v_fma_f32 v67, v21, 2.0, -v55
	v_sub_f32_e32 v69, v31, v14
	v_add_u32_e32 v20, 0x800, v43
	v_add_u32_e32 v21, 0x400, v43
	;; [unrolled: 1-line block ×3, first 2 shown]
	v_fma_f32 v41, v44, 2.0, -v39
	v_sub_f32_e32 v44, v42, v12
	v_sub_f32_e32 v45, v40, v13
	v_fma_f32 v47, v33, 2.0, -v46
	v_fma_f32 v49, v27, 2.0, -v48
	v_fma_f32 v51, v25, 2.0, -v50
	v_sub_f32_e32 v68, v38, v9
	v_fma_f32 v70, v31, 2.0, -v69
	v_sub_f32_e32 v5, v4, v15
	s_waitcnt lgkmcnt(0)
	; wave barrier
	s_waitcnt lgkmcnt(0)
	ds_read_b32 v31, v43
	ds_read_b32 v35, v32
	ds_read2_b32 v[14:15], v20 offset0:104 offset1:148
	ds_read2_b32 v[16:17], v21 offset0:96 offset1:140
	;; [unrolled: 1-line block ×6, first 2 shown]
	ds_read_b32 v30, v2
	ds_read_b32 v27, v18
	;; [unrolled: 1-line block ×6, first 2 shown]
	ds_read_b32 v34, v43 offset:3520
	v_fma_f32 v42, v42, 2.0, -v44
	v_fma_f32 v40, v40, 2.0, -v45
	;; [unrolled: 1-line block ×3, first 2 shown]
	s_waitcnt lgkmcnt(0)
	; wave barrier
	s_waitcnt lgkmcnt(0)
	ds_write2_b32 v53, v41, v39 offset1:2
	ds_write2_b32 v64, v42, v44 offset1:2
	;; [unrolled: 1-line block ×10, first 2 shown]
	s_and_saveexec_b64 s[4:5], s[0:1]
	s_cbranch_execz .LBB0_27
; %bb.26:
	s_movk_i32 s0, 0x3fc
	v_and_or_b32 v36, v37, s0, v36
	v_fma_f32 v4, v4, 2.0, -v5
	v_lshl_add_u32 v36, v36, 2, 0
	ds_write2_b32 v36, v4, v5 offset1:2
.LBB0_27:
	s_or_b64 exec, exec, s[4:5]
	v_and_b32_e32 v4, 3, v56
	v_lshlrev_b32_e32 v36, 4, v4
	s_waitcnt lgkmcnt(0)
	; wave barrier
	s_waitcnt lgkmcnt(0)
	global_load_dwordx4 v[36:39], v36, s[8:9] offset:16
	ds_read_b32 v54, v43
	ds_read_b32 v32, v32
	ds_read2_b32 v[40:41], v20 offset0:104 offset1:148
	ds_read2_b32 v[44:45], v21 offset0:96 offset1:140
	ds_read2_b32 v[46:47], v20 offset0:192 offset1:236
	ds_read2_b32 v[48:49], v21 offset0:184 offset1:228
	ds_read2_b32 v[50:51], v23 offset0:24 offset1:68
	ds_read2_b32 v[52:53], v20 offset0:16 offset1:60
	ds_read_b32 v55, v2
	ds_read_b32 v64, v18
	ds_read_b32 v28, v28
	ds_read_b32 v29, v29
	ds_read_b32 v65, v19
	ds_read_b32 v66, v60
	ds_read_b32 v42, v43 offset:3520
	s_waitcnt lgkmcnt(0)
	; wave barrier
	s_waitcnt lgkmcnt(0)
	s_movk_i32 s0, 0xab
	s_mov_b32 s6, 0x3f5ff5aa
	s_mov_b32 s7, 0x3f3bfb3b
	;; [unrolled: 1-line block ×4, first 2 shown]
	s_waitcnt vmcnt(0)
	v_mul_f32_e32 v67, v32, v37
	v_mul_f32_e32 v69, v40, v39
	;; [unrolled: 1-line block ×16, first 2 shown]
	v_fma_f32 v35, v35, v36, -v67
	v_fma_f32 v14, v14, v38, -v69
	v_mul_f32_e32 v74, v15, v39
	v_mul_f32_e32 v92, v42, v39
	v_fmac_f32_e32 v68, v32, v36
	v_fmac_f32_e32 v70, v40, v38
	v_fma_f32 v16, v16, v36, -v71
	v_fmac_f32_e32 v72, v44, v36
	v_fma_f32 v17, v17, v36, -v75
	;; [unrolled: 2-line block ×6, first 2 shown]
	v_fmac_f32_e32 v37, v53, v36
	v_add_f32_e32 v36, v35, v14
	v_mul_f32_e32 v73, v41, v39
	v_mul_f32_e32 v77, v46, v39
	;; [unrolled: 1-line block ×10, first 2 shown]
	v_fmac_f32_e32 v74, v41, v38
	v_fma_f32 v32, v34, v38, -v92
	v_add_f32_e32 v34, v31, v35
	v_add_f32_e32 v40, v54, v68
	;; [unrolled: 1-line block ×3, first 2 shown]
	v_fmac_f32_e32 v31, -0.5, v36
	v_fma_f32 v15, v15, v38, -v73
	v_fma_f32 v12, v12, v38, -v77
	v_fmac_f32_e32 v78, v46, v38
	v_fma_f32 v13, v13, v38, -v81
	v_fmac_f32_e32 v82, v47, v38
	;; [unrolled: 2-line block ×4, first 2 shown]
	v_fmac_f32_e32 v39, v42, v38
	v_sub_f32_e32 v38, v68, v70
	v_add_f32_e32 v36, v40, v70
	v_fmac_f32_e32 v54, -0.5, v41
	v_mov_b32_e32 v40, v31
	v_add_f32_e32 v34, v34, v14
	v_fmac_f32_e32 v31, 0xbf5db3d7, v38
	v_fmac_f32_e32 v40, 0x3f5db3d7, v38
	v_sub_f32_e32 v14, v35, v14
	v_mov_b32_e32 v35, v54
	v_add_f32_e32 v38, v16, v15
	v_fmac_f32_e32 v35, 0xbf5db3d7, v14
	v_fmac_f32_e32 v54, 0x3f5db3d7, v14
	v_add_f32_e32 v14, v33, v16
	v_fmac_f32_e32 v33, -0.5, v38
	v_sub_f32_e32 v38, v72, v74
	v_mov_b32_e32 v41, v33
	v_add_f32_e32 v42, v72, v74
	v_fmac_f32_e32 v41, 0x3f5db3d7, v38
	v_fmac_f32_e32 v33, 0xbf5db3d7, v38
	v_add_f32_e32 v38, v66, v72
	v_fmac_f32_e32 v66, -0.5, v42
	v_add_f32_e32 v14, v14, v15
	v_sub_f32_e32 v15, v16, v15
	v_mov_b32_e32 v16, v66
	v_add_f32_e32 v42, v17, v12
	v_fmac_f32_e32 v16, 0xbf5db3d7, v15
	v_fmac_f32_e32 v66, 0x3f5db3d7, v15
	v_add_f32_e32 v15, v30, v17
	v_fmac_f32_e32 v30, -0.5, v42
	v_sub_f32_e32 v42, v76, v78
	v_mov_b32_e32 v44, v30
	v_fmac_f32_e32 v44, 0x3f5db3d7, v42
	v_fmac_f32_e32 v30, 0xbf5db3d7, v42
	v_add_f32_e32 v42, v55, v76
	v_add_f32_e32 v47, v42, v78
	v_add_f32_e32 v42, v76, v78
	v_fmac_f32_e32 v55, -0.5, v42
	v_add_f32_e32 v15, v15, v12
	v_sub_f32_e32 v12, v17, v12
	v_mov_b32_e32 v17, v55
	v_add_f32_e32 v42, v10, v13
	v_fmac_f32_e32 v17, 0xbf5db3d7, v12
	v_fmac_f32_e32 v55, 0x3f5db3d7, v12
	v_add_f32_e32 v12, v27, v10
	v_fmac_f32_e32 v27, -0.5, v42
	v_sub_f32_e32 v42, v80, v82
	v_mov_b32_e32 v45, v27
	v_fmac_f32_e32 v45, 0x3f5db3d7, v42
	v_fmac_f32_e32 v27, 0xbf5db3d7, v42
	v_add_f32_e32 v42, v64, v80
	v_add_f32_e32 v50, v42, v82
	;; [unrolled: 16-line block ×5, first 2 shown]
	v_fmac_f32_e32 v65, -0.5, v37
	v_add_f32_e32 v6, v6, v32
	v_sub_f32_e32 v7, v7, v32
	v_mov_b32_e32 v37, v65
	v_lshrrev_b32_e32 v32, 2, v57
	v_fmac_f32_e32 v37, 0xbf5db3d7, v7
	v_fmac_f32_e32 v65, 0x3f5db3d7, v7
	v_lshrrev_b32_e32 v7, 2, v56
	v_mul_lo_u32 v32, v32, 12
	v_mul_u32_u24_e32 v7, 12, v7
	v_or_b32_e32 v7, v7, v4
	v_lshl_add_u32 v7, v7, 2, 0
	ds_write2_b32 v7, v34, v40 offset1:4
	ds_write_b32 v7, v31 offset:32
	v_or_b32_e32 v31, v32, v4
	v_lshrrev_b32_e32 v32, 2, v58
	v_mul_lo_u32 v32, v32, 12
	v_lshl_add_u32 v31, v31, 2, 0
	ds_write2_b32 v31, v14, v41 offset1:4
	ds_write_b32 v31, v33 offset:32
	v_add_u32_e32 v34, 0x600, v43
	v_or_b32_e32 v14, v32, v4
	v_lshrrev_b32_e32 v32, 2, v59
	v_mul_lo_u32 v32, v32, 12
	v_lshl_add_u32 v14, v14, 2, 0
	ds_write2_b32 v14, v15, v44 offset1:4
	ds_write_b32 v14, v30 offset:32
	v_lshrrev_b32_e32 v30, 2, v61
	v_mul_lo_u32 v30, v30, 12
	v_or_b32_e32 v15, v32, v4
	v_lshl_add_u32 v15, v15, 2, 0
	ds_write2_b32 v15, v12, v45 offset1:4
	ds_write_b32 v15, v27 offset:32
	v_or_b32_e32 v12, v30, v4
	v_lshl_add_u32 v12, v12, 2, 0
	v_lshrrev_b32_e32 v27, 2, v62
	ds_write2_b32 v12, v10, v46 offset1:4
	ds_write_b32 v12, v26 offset:32
	v_lshrrev_b32_e32 v26, 2, v63
	v_mul_lo_u32 v27, v27, 12
	v_mul_lo_u32 v26, v26, 12
	v_add_u32_e32 v59, 0xa00, v43
	v_add_u32_e32 v61, 0x200, v43
	v_or_b32_e32 v10, v27, v4
	v_or_b32_e32 v4, v26, v4
	v_lshl_add_u32 v10, v10, 2, 0
	v_lshl_add_u32 v4, v4, 2, 0
	v_add_f32_e32 v38, v38, v74
	v_add_f32_e32 v53, v42, v39
	ds_write2_b32 v10, v8, v48 offset1:4
	ds_write_b32 v10, v25 offset:32
	ds_write2_b32 v4, v6, v49 offset1:4
	ds_write_b32 v4, v24 offset:32
	s_waitcnt lgkmcnt(0)
	; wave barrier
	s_waitcnt lgkmcnt(0)
	ds_read2_b32 v[32:33], v43 offset1:176
	ds_read_b32 v44, v19
	ds_read_b32 v67, v22
	ds_read2_b32 v[39:40], v34 offset0:100 offset1:144
	ds_read2_b32 v[41:42], v20 offset0:148 offset1:192
	;; [unrolled: 1-line block ×3, first 2 shown]
	ds_read_b32 v103, v60
	ds_read2_b32 v[48:49], v61 offset0:92 offset1:180
	ds_read2_b32 v[87:88], v21 offset0:96 offset1:184
	;; [unrolled: 1-line block ×4, first 2 shown]
	ds_read_b32 v62, v18
	ds_read_b32 v104, v2
	s_waitcnt lgkmcnt(0)
	; wave barrier
	s_waitcnt lgkmcnt(0)
	ds_write2_b32 v7, v36, v35 offset1:4
	ds_write_b32 v7, v54 offset:32
	ds_write2_b32 v31, v38, v16 offset1:4
	ds_write_b32 v31, v66 offset:32
	;; [unrolled: 2-line block ×7, first 2 shown]
	v_mul_lo_u16_sdwa v4, v56, s0 dst_sel:DWORD dst_unused:UNUSED_PAD src0_sel:BYTE_0 src1_sel:DWORD
	v_lshrrev_b16_e32 v105, 11, v4
	v_mul_lo_u16_e32 v4, 12, v105
	v_sub_u16_e32 v106, v56, v4
	v_mov_b32_e32 v4, 6
	v_mul_u32_u24_sdwa v6, v106, v4 dst_sel:DWORD dst_unused:UNUSED_PAD src0_sel:BYTE_0 src1_sel:DWORD
	v_lshlrev_b32_e32 v14, 3, v6
	s_waitcnt lgkmcnt(0)
	; wave barrier
	s_waitcnt lgkmcnt(0)
	global_load_dwordx4 v[6:9], v14, s[8:9] offset:80
	global_load_dwordx4 v[10:13], v14, s[8:9] offset:96
	;; [unrolled: 1-line block ×3, first 2 shown]
	v_mul_lo_u16_sdwa v14, v57, s0 dst_sel:DWORD dst_unused:UNUSED_PAD src0_sel:BYTE_0 src1_sel:DWORD
	v_lshrrev_b16_e32 v107, 11, v14
	v_mul_lo_u16_e32 v14, 12, v107
	v_sub_u16_e32 v108, v57, v14
	v_mul_u32_u24_sdwa v14, v108, v4 dst_sel:DWORD dst_unused:UNUSED_PAD src0_sel:BYTE_0 src1_sel:DWORD
	v_lshlrev_b32_e32 v14, 3, v14
	global_load_dwordx4 v[28:31], v14, s[8:9] offset:80
	global_load_dwordx4 v[35:38], v14, s[8:9] offset:96
	;; [unrolled: 1-line block ×3, first 2 shown]
	v_mul_lo_u16_sdwa v14, v58, s0 dst_sel:DWORD dst_unused:UNUSED_PAD src0_sel:BYTE_0 src1_sel:DWORD
	v_lshrrev_b16_e32 v109, 11, v14
	v_mul_lo_u16_e32 v14, 12, v109
	v_sub_u16_e32 v110, v58, v14
	v_mul_u32_u24_sdwa v4, v110, v4 dst_sel:DWORD dst_unused:UNUSED_PAD src0_sel:BYTE_0 src1_sel:DWORD
	v_lshlrev_b32_e32 v4, 3, v4
	global_load_dwordx4 v[75:78], v4, s[8:9] offset:80
	global_load_dwordx4 v[79:82], v4, s[8:9] offset:96
	;; [unrolled: 1-line block ×3, first 2 shown]
	ds_read2_b32 v[14:15], v43 offset1:176
	ds_read_b32 v17, v19
	ds_read_b32 v19, v22
	ds_read2_b32 v[93:94], v34 offset0:100 offset1:144
	ds_read2_b32 v[53:54], v20 offset0:148 offset1:192
	ds_read2_b32 v[95:96], v59 offset0:108 offset1:152
	ds_read_b32 v16, v60
	ds_read2_b32 v[97:98], v61 offset0:92 offset1:180
	ds_read_b32 v18, v18
	ds_read2_b32 v[99:100], v21 offset0:96 offset1:184
	ds_read2_b32 v[101:102], v20 offset0:60 offset1:104
	;; [unrolled: 1-line block ×3, first 2 shown]
	ds_read_b32 v4, v2
	s_waitcnt lgkmcnt(0)
	; wave barrier
	s_waitcnt lgkmcnt(0)
	v_cmp_gt_u32_e64 s[0:1], 40, v56
	s_waitcnt vmcnt(8)
	v_mul_f32_e32 v2, v18, v7
	v_fma_f32 v55, v62, v6, -v2
	v_mul_f32_e32 v2, v17, v9
	v_fma_f32 v61, v44, v8, -v2
	s_waitcnt vmcnt(7)
	v_mul_f32_e32 v2, v19, v11
	v_fma_f32 v63, v67, v10, -v2
	v_mul_f32_e32 v2, v94, v13
	v_fma_f32 v65, v40, v12, -v2
	s_waitcnt vmcnt(6)
	v_mul_f32_e32 v2, v53, v25
	v_mul_f32_e32 v64, v67, v11
	v_fma_f32 v67, v41, v24, -v2
	v_mul_f32_e32 v2, v96, v27
	v_fma_f32 v69, v46, v26, -v2
	s_waitcnt vmcnt(5)
	v_mul_f32_e32 v2, v15, v29
	v_mul_f32_e32 v66, v40, v13
	;; [unrolled: 1-line block ×3, first 2 shown]
	v_fma_f32 v40, v33, v28, -v2
	v_mul_f32_e32 v41, v33, v29
	v_mul_f32_e32 v2, v98, v31
	v_fmac_f32_e32 v41, v15, v28
	v_fma_f32 v15, v49, v30, -v2
	s_waitcnt vmcnt(4)
	v_mul_f32_e32 v2, v100, v36
	v_fma_f32 v47, v88, v35, -v2
	v_mul_f32_e32 v2, v101, v38
	v_fma_f32 v50, v89, v37, -v2
	s_waitcnt vmcnt(3)
	v_mul_f32_e32 v2, v54, v72
	v_fmac_f32_e32 v68, v53, v24
	v_fma_f32 v52, v42, v71, -v2
	v_mul_f32_e32 v53, v42, v72
	v_mul_f32_e32 v2, v22, v74
	v_mul_f32_e32 v59, v62, v7
	v_mul_f32_e32 v62, v44, v9
	v_fmac_f32_e32 v53, v54, v71
	v_fma_f32 v54, v91, v73, -v2
	s_waitcnt vmcnt(2)
	v_mul_f32_e32 v2, v97, v76
	v_fmac_f32_e32 v62, v17, v8
	v_fma_f32 v17, v48, v75, -v2
	v_mul_f32_e32 v2, v99, v78
	v_fmac_f32_e32 v64, v19, v10
	v_fma_f32 v19, v87, v77, -v2
	s_waitcnt vmcnt(1)
	v_mul_f32_e32 v2, v93, v80
	v_fma_f32 v25, v39, v79, -v2
	v_mul_f32_e32 v2, v102, v82
	v_mul_f32_e32 v44, v49, v31
	v_mul_f32_e32 v49, v88, v36
	v_fma_f32 v36, v90, v81, -v2
	s_waitcnt vmcnt(0)
	v_mul_f32_e32 v2, v95, v84
	v_mul_f32_e32 v51, v89, v38
	v_fma_f32 v38, v45, v83, -v2
	v_mul_f32_e32 v2, v23, v86
	v_mul_f32_e32 v70, v46, v27
	v_fma_f32 v46, v92, v85, -v2
	v_add_f32_e32 v2, v55, v69
	v_add_f32_e32 v7, v61, v67
	v_fmac_f32_e32 v66, v94, v12
	v_add_f32_e32 v9, v63, v65
	v_add_f32_e32 v11, v7, v2
	v_fmac_f32_e32 v59, v18, v6
	v_fmac_f32_e32 v70, v96, v26
	v_mul_f32_e32 v58, v91, v74
	v_mul_f32_e32 v18, v48, v76
	;; [unrolled: 1-line block ×3, first 2 shown]
	v_sub_f32_e32 v8, v62, v68
	v_sub_f32_e32 v10, v66, v64
	;; [unrolled: 1-line block ×5, first 2 shown]
	v_add_f32_e32 v9, v9, v11
	v_fmac_f32_e32 v58, v22, v73
	v_fmac_f32_e32 v48, v23, v85
	v_sub_f32_e32 v6, v59, v70
	v_add_f32_e32 v13, v10, v8
	v_sub_f32_e32 v22, v10, v8
	v_add_f32_e32 v23, v32, v9
	v_sub_f32_e32 v10, v6, v10
	v_sub_f32_e32 v8, v8, v6
	v_add_f32_e32 v6, v13, v6
	v_mul_f32_e32 v2, 0x3f4a47b2, v2
	v_mul_f32_e32 v11, 0x3d64c772, v7
	;; [unrolled: 1-line block ×3, first 2 shown]
	v_mov_b32_e32 v26, v23
	v_fmac_f32_e32 v26, 0xbf955555, v9
	v_fma_f32 v9, v12, s7, -v11
	v_fma_f32 v11, v12, s10, -v2
	v_fmac_f32_e32 v2, 0x3d64c772, v7
	v_fma_f32 v7, v8, s6, -v13
	v_fmac_f32_e32 v13, 0x3eae86e6, v10
	v_mul_f32_e32 v22, 0x3f5ff5aa, v8
	v_add_f32_e32 v2, v2, v26
	v_add_f32_e32 v9, v9, v26
	v_fmac_f32_e32 v13, 0x3ee1c552, v6
	v_fmac_f32_e32 v7, 0x3ee1c552, v6
	;; [unrolled: 1-line block ×3, first 2 shown]
	v_fma_f32 v8, v10, s11, -v22
	v_add_f32_e32 v22, v13, v2
	v_sub_f32_e32 v27, v9, v7
	v_add_f32_e32 v28, v7, v9
	v_sub_f32_e32 v30, v2, v13
	v_add_f32_e32 v2, v40, v54
	v_add_f32_e32 v7, v15, v52
	v_fmac_f32_e32 v49, v100, v35
	v_fmac_f32_e32 v51, v101, v37
	v_add_f32_e32 v10, v11, v26
	v_fmac_f32_e32 v8, 0x3ee1c552, v6
	v_add_f32_e32 v9, v47, v50
	v_add_f32_e32 v11, v7, v2
	;; [unrolled: 1-line block ×3, first 2 shown]
	v_sub_f32_e32 v29, v10, v8
	v_sub_f32_e32 v8, v44, v53
	v_sub_f32_e32 v10, v51, v49
	v_sub_f32_e32 v12, v7, v2
	v_sub_f32_e32 v2, v2, v9
	v_sub_f32_e32 v7, v9, v7
	v_add_f32_e32 v9, v9, v11
	v_sub_f32_e32 v6, v41, v58
	v_add_f32_e32 v13, v10, v8
	v_sub_f32_e32 v31, v10, v8
	;; [unrolled: 2-line block ×3, first 2 shown]
	v_sub_f32_e32 v8, v8, v6
	v_add_f32_e32 v6, v13, v6
	v_mul_f32_e32 v2, 0x3f4a47b2, v2
	v_mul_f32_e32 v11, 0x3d64c772, v7
	v_mul_f32_e32 v13, 0xbf08b237, v31
	v_mov_b32_e32 v33, v32
	v_mul_f32_e32 v31, 0x3f5ff5aa, v8
	v_fmac_f32_e32 v33, 0xbf955555, v9
	v_fma_f32 v9, v12, s7, -v11
	v_fma_f32 v11, v12, s10, -v2
	v_fmac_f32_e32 v2, 0x3d64c772, v7
	v_fma_f32 v7, v8, s6, -v13
	v_fmac_f32_e32 v13, 0x3eae86e6, v10
	v_mul_f32_e32 v24, v87, v78
	v_mul_f32_e32 v35, v39, v80
	;; [unrolled: 1-line block ×4, first 2 shown]
	v_fma_f32 v8, v10, s11, -v31
	v_add_f32_e32 v2, v2, v33
	v_add_f32_e32 v9, v9, v33
	v_fmac_f32_e32 v13, 0x3ee1c552, v6
	v_fmac_f32_e32 v7, 0x3ee1c552, v6
	;; [unrolled: 1-line block ×6, first 2 shown]
	v_add_f32_e32 v10, v11, v33
	v_fmac_f32_e32 v8, 0x3ee1c552, v6
	v_add_f32_e32 v31, v13, v2
	v_sub_f32_e32 v45, v9, v7
	v_add_f32_e32 v42, v7, v9
	v_sub_f32_e32 v7, v2, v13
	v_add_f32_e32 v2, v17, v46
	v_add_f32_e32 v9, v19, v38
	v_fmac_f32_e32 v18, v97, v75
	v_add_f32_e32 v33, v8, v10
	v_sub_f32_e32 v6, v10, v8
	v_sub_f32_e32 v10, v24, v39
	v_add_f32_e32 v11, v25, v36
	v_sub_f32_e32 v12, v37, v35
	v_add_f32_e32 v13, v9, v2
	v_sub_f32_e32 v8, v18, v48
	v_sub_f32_e32 v71, v9, v2
	;; [unrolled: 1-line block ×4, first 2 shown]
	v_add_f32_e32 v72, v12, v10
	v_add_f32_e32 v11, v11, v13
	v_sub_f32_e32 v73, v12, v10
	v_sub_f32_e32 v12, v8, v12
	;; [unrolled: 1-line block ×3, first 2 shown]
	v_add_f32_e32 v13, v72, v8
	v_add_f32_e32 v8, v104, v11
	v_mul_f32_e32 v2, 0x3f4a47b2, v2
	v_mul_f32_e32 v72, 0x3d64c772, v9
	;; [unrolled: 1-line block ×3, first 2 shown]
	v_mov_b32_e32 v75, v8
	v_mul_f32_e32 v74, 0x3f5ff5aa, v10
	v_fmac_f32_e32 v75, 0xbf955555, v11
	v_fma_f32 v11, v71, s7, -v72
	v_fma_f32 v71, v71, s10, -v2
	v_fmac_f32_e32 v2, 0x3d64c772, v9
	v_fma_f32 v72, v10, s6, -v73
	v_fmac_f32_e32 v73, 0x3eae86e6, v12
	v_fma_f32 v74, v12, s11, -v74
	v_add_f32_e32 v2, v2, v75
	v_fmac_f32_e32 v73, 0x3ee1c552, v13
	v_add_f32_e32 v12, v11, v75
	v_add_f32_e32 v71, v71, v75
	v_fmac_f32_e32 v72, 0x3ee1c552, v13
	v_fmac_f32_e32 v74, 0x3ee1c552, v13
	v_add_f32_e32 v9, v73, v2
	v_sub_f32_e32 v2, v2, v73
	v_mov_b32_e32 v73, 2
	v_add_f32_e32 v10, v74, v71
	v_sub_f32_e32 v11, v12, v72
	v_add_f32_e32 v12, v72, v12
	v_sub_f32_e32 v13, v71, v74
	v_mul_u32_u24_e32 v71, 0x150, v105
	v_lshlrev_b32_sdwa v72, v73, v106 dst_sel:DWORD dst_unused:UNUSED_PAD src0_sel:DWORD src1_sel:BYTE_0
	v_add3_u32 v71, 0, v71, v72
	ds_write2_b32 v71, v23, v22 offset1:12
	ds_write2_b32 v71, v26, v27 offset0:24 offset1:36
	ds_write2_b32 v71, v28, v29 offset0:48 offset1:60
	ds_write_b32 v71, v30 offset:288
	v_mul_u32_u24_e32 v22, 0x150, v107
	v_lshlrev_b32_sdwa v23, v73, v108 dst_sel:DWORD dst_unused:UNUSED_PAD src0_sel:DWORD src1_sel:BYTE_0
	v_add3_u32 v72, 0, v22, v23
	v_mul_u32_u24_e32 v22, 0x150, v109
	v_lshlrev_b32_sdwa v23, v73, v110 dst_sel:DWORD dst_unused:UNUSED_PAD src0_sel:DWORD src1_sel:BYTE_0
	v_add3_u32 v73, 0, v22, v23
	ds_write2_b32 v72, v32, v31 offset1:12
	ds_write2_b32 v72, v33, v45 offset0:24 offset1:36
	ds_write2_b32 v72, v42, v6 offset0:48 offset1:60
	ds_write_b32 v72, v7 offset:288
	ds_write2_b32 v73, v8, v9 offset1:12
	ds_write2_b32 v73, v10, v11 offset0:24 offset1:36
	ds_write2_b32 v73, v12, v13 offset0:48 offset1:60
	ds_write_b32 v73, v2 offset:288
	s_waitcnt lgkmcnt(0)
	; wave barrier
	s_waitcnt lgkmcnt(0)
	ds_read2_b32 v[22:23], v43 offset1:84
	ds_read2_b32 v[30:31], v43 offset0:168 offset1:252
	ds_read2_b32 v[26:27], v21 offset0:80 offset1:164
	ds_read2_b32 v[28:29], v34 offset0:120 offset1:204
	ds_read2_b32 v[32:33], v20 offset0:160 offset1:244
	ds_read_b32 v45, v43 offset:3360
	s_and_saveexec_b64 s[4:5], s[0:1]
	s_cbranch_execz .LBB0_29
; %bb.28:
	v_add_u32_e32 v2, 0x400, v43
	ds_read_b32 v42, v60
	ds_read2_b32 v[6:7], v43 offset0:128 offset1:212
	ds_read2_b32 v[8:9], v2 offset0:40 offset1:124
	;; [unrolled: 1-line block ×3, first 2 shown]
	v_add_u32_e32 v2, 0x800, v43
	ds_read2_b32 v[12:13], v2 offset0:120 offset1:204
	v_add_u32_e32 v2, 0xc00, v43
	ds_read2_b32 v[2:3], v2 offset0:32 offset1:116
.LBB0_29:
	s_or_b64 exec, exec, s[4:5]
	v_add_f32_e32 v20, v59, v70
	v_sub_f32_e32 v21, v55, v69
	v_add_f32_e32 v55, v62, v68
	v_sub_f32_e32 v59, v61, v67
	;; [unrolled: 2-line block ×4, first 2 shown]
	v_sub_f32_e32 v20, v20, v61
	v_sub_f32_e32 v55, v61, v55
	v_add_f32_e32 v61, v61, v63
	v_add_f32_e32 v65, v62, v59
	v_sub_f32_e32 v66, v62, v59
	v_sub_f32_e32 v59, v59, v21
	v_add_f32_e32 v63, v14, v61
	v_sub_f32_e32 v62, v21, v62
	v_add_f32_e32 v21, v65, v21
	v_mul_f32_e32 v14, 0x3f4a47b2, v20
	v_mul_f32_e32 v65, 0xbf08b237, v66
	;; [unrolled: 1-line block ×3, first 2 shown]
	v_mov_b32_e32 v67, v63
	v_mul_f32_e32 v20, 0x3d64c772, v55
	v_fmac_f32_e32 v67, 0xbf955555, v61
	v_fma_f32 v61, v64, s10, -v14
	v_fmac_f32_e32 v14, 0x3d64c772, v55
	v_fma_f32 v55, v59, s6, -v65
	v_fmac_f32_e32 v65, 0x3eae86e6, v62
	v_fma_f32 v59, v62, s11, -v66
	v_fma_f32 v20, v64, s7, -v20
	v_add_f32_e32 v14, v14, v67
	v_add_f32_e32 v61, v61, v67
	v_fmac_f32_e32 v65, 0x3ee1c552, v21
	v_fmac_f32_e32 v59, 0x3ee1c552, v21
	v_add_f32_e32 v20, v20, v67
	v_fmac_f32_e32 v55, 0x3ee1c552, v21
	v_sub_f32_e32 v62, v14, v65
	v_sub_f32_e32 v64, v61, v59
	v_add_f32_e32 v59, v59, v61
	v_add_f32_e32 v61, v65, v14
	;; [unrolled: 1-line block ×5, first 2 shown]
	v_sub_f32_e32 v55, v20, v55
	v_sub_f32_e32 v20, v40, v54
	;; [unrolled: 1-line block ×3, first 2 shown]
	v_add_f32_e32 v40, v49, v51
	v_sub_f32_e32 v41, v50, v47
	v_add_f32_e32 v44, v21, v14
	v_sub_f32_e32 v47, v21, v14
	v_sub_f32_e32 v14, v14, v40
	;; [unrolled: 1-line block ×3, first 2 shown]
	v_add_f32_e32 v49, v41, v15
	v_add_f32_e32 v40, v40, v44
	v_sub_f32_e32 v50, v41, v15
	v_sub_f32_e32 v41, v20, v41
	;; [unrolled: 1-line block ×3, first 2 shown]
	v_add_f32_e32 v20, v49, v20
	v_add_f32_e32 v49, v16, v40
	v_mul_f32_e32 v14, 0x3f4a47b2, v14
	v_mul_f32_e32 v16, 0x3d64c772, v21
	;; [unrolled: 1-line block ×4, first 2 shown]
	v_mov_b32_e32 v51, v49
	v_fmac_f32_e32 v51, 0xbf955555, v40
	v_fma_f32 v16, v47, s7, -v16
	v_fma_f32 v40, v47, s10, -v14
	v_fmac_f32_e32 v14, 0x3d64c772, v21
	v_fma_f32 v15, v15, s6, -v50
	v_fma_f32 v21, v41, s11, -v44
	v_fmac_f32_e32 v50, 0x3eae86e6, v41
	v_add_f32_e32 v41, v14, v51
	v_add_f32_e32 v14, v16, v51
	;; [unrolled: 1-line block ×3, first 2 shown]
	v_fmac_f32_e32 v15, 0x3ee1c552, v20
	v_fmac_f32_e32 v21, 0x3ee1c552, v20
	v_sub_f32_e32 v47, v16, v21
	v_add_f32_e32 v51, v15, v14
	v_sub_f32_e32 v44, v14, v15
	v_add_f32_e32 v14, v21, v16
	v_add_f32_e32 v16, v18, v48
	;; [unrolled: 1-line block ×3, first 2 shown]
	v_fmac_f32_e32 v50, 0x3ee1c552, v20
	v_sub_f32_e32 v19, v19, v38
	v_add_f32_e32 v20, v35, v37
	v_sub_f32_e32 v21, v36, v25
	v_add_f32_e32 v24, v18, v16
	v_sub_f32_e32 v17, v17, v46
	v_sub_f32_e32 v25, v18, v16
	;; [unrolled: 1-line block ×4, first 2 shown]
	v_add_f32_e32 v16, v21, v19
	v_add_f32_e32 v20, v20, v24
	v_sub_f32_e32 v36, v21, v19
	v_sub_f32_e32 v21, v17, v21
	;; [unrolled: 1-line block ×3, first 2 shown]
	v_add_f32_e32 v17, v16, v17
	v_add_f32_e32 v16, v4, v20
	v_mul_f32_e32 v4, 0x3f4a47b2, v35
	v_mul_f32_e32 v24, 0x3d64c772, v18
	;; [unrolled: 1-line block ×4, first 2 shown]
	v_mov_b32_e32 v37, v16
	v_fmac_f32_e32 v37, 0xbf955555, v20
	v_fma_f32 v20, v25, s7, -v24
	v_fma_f32 v24, v25, s10, -v4
	v_fmac_f32_e32 v4, 0x3d64c772, v18
	v_fma_f32 v25, v19, s6, -v35
	v_fmac_f32_e32 v35, 0x3eae86e6, v21
	v_fma_f32 v21, v21, s11, -v36
	v_add_f32_e32 v4, v4, v37
	v_add_f32_e32 v20, v20, v37
	;; [unrolled: 1-line block ×3, first 2 shown]
	v_fmac_f32_e32 v35, 0x3ee1c552, v17
	v_fmac_f32_e32 v25, 0x3ee1c552, v17
	;; [unrolled: 1-line block ×3, first 2 shown]
	v_sub_f32_e32 v40, v41, v50
	v_add_f32_e32 v15, v50, v41
	v_sub_f32_e32 v17, v4, v35
	v_sub_f32_e32 v18, v24, v21
	v_add_f32_e32 v19, v25, v20
	v_sub_f32_e32 v20, v20, v25
	v_add_f32_e32 v21, v21, v24
	v_add_f32_e32 v4, v35, v4
	s_waitcnt lgkmcnt(0)
	; wave barrier
	s_waitcnt lgkmcnt(0)
	ds_write2_b32 v71, v63, v62 offset1:12
	ds_write2_b32 v71, v64, v66 offset0:24 offset1:36
	ds_write2_b32 v71, v55, v59 offset0:48 offset1:60
	ds_write_b32 v71, v61 offset:288
	ds_write2_b32 v72, v49, v40 offset1:12
	ds_write2_b32 v72, v47, v51 offset0:24 offset1:36
	ds_write2_b32 v72, v44, v14 offset0:48 offset1:60
	ds_write_b32 v72, v15 offset:288
	;; [unrolled: 4-line block ×3, first 2 shown]
	v_add_u32_e32 v48, 0x400, v43
	v_add_u32_e32 v47, 0x800, v43
	s_waitcnt lgkmcnt(0)
	; wave barrier
	s_waitcnt lgkmcnt(0)
	ds_read2_b32 v[24:25], v43 offset1:84
	ds_read2_b32 v[38:39], v43 offset0:168 offset1:252
	ds_read2_b32 v[36:37], v48 offset0:80 offset1:164
	;; [unrolled: 1-line block ×4, first 2 shown]
	ds_read_b32 v46, v43 offset:3360
	s_and_saveexec_b64 s[4:5], s[0:1]
	s_cbranch_execz .LBB0_31
; %bb.30:
	v_add_u32_e32 v4, 0x600, v43
	ds_read_b32 v44, v60
	ds_read2_b32 v[14:15], v43 offset0:128 offset1:212
	ds_read2_b32 v[16:17], v48 offset0:40 offset1:124
	;; [unrolled: 1-line block ×4, first 2 shown]
	v_add_u32_e32 v4, 0xc00, v43
	ds_read2_b32 v[4:5], v4 offset0:32 offset1:116
.LBB0_31:
	s_or_b64 exec, exec, s[4:5]
	s_and_saveexec_b64 s[4:5], vcc
	s_cbranch_execz .LBB0_34
; %bb.32:
	v_mul_u32_u24_e32 v43, 10, v56
	v_lshlrev_b32_e32 v43, 3, v43
	global_load_dwordx4 v[47:50], v43, s[8:9] offset:720
	global_load_dwordx4 v[51:54], v43, s[8:9] offset:656
	;; [unrolled: 1-line block ×5, first 2 shown]
	s_mov_b32 s10, 0xbf75a155
	s_mov_b32 s6, 0x3f575c64
	;; [unrolled: 1-line block ×5, first 2 shown]
	v_add_co_u32_e32 v0, vcc, s12, v0
	s_waitcnt vmcnt(4) lgkmcnt(0)
	v_mul_f32_e32 v43, v46, v49
	s_waitcnt vmcnt(3)
	v_mul_f32_e32 v55, v25, v51
	v_mul_f32_e32 v25, v25, v52
	;; [unrolled: 1-line block ×4, first 2 shown]
	v_fmac_f32_e32 v43, v45, v50
	v_fmac_f32_e32 v55, v23, v52
	v_mul_f32_e32 v46, v46, v50
	v_mul_f32_e32 v41, v41, v48
	s_waitcnt vmcnt(2)
	v_mul_f32_e32 v72, v40, v60
	s_waitcnt vmcnt(1)
	v_mul_f32_e32 v73, v39, v62
	v_mul_f32_e32 v74, v35, v58
	s_waitcnt vmcnt(0)
	v_mul_f32_e32 v77, v37, v66
	v_mul_f32_e32 v37, v37, v67
	v_fma_f32 v50, v23, v51, -v25
	v_fmac_f32_e32 v70, v33, v48
	v_fmac_f32_e32 v71, v30, v54
	v_add_f32_e32 v23, v43, v55
	v_mul_f32_e32 v38, v38, v54
	v_mul_f32_e32 v40, v40, v61
	;; [unrolled: 1-line block ×6, first 2 shown]
	v_fma_f32 v52, v45, v49, -v46
	v_fma_f32 v41, v33, v47, -v41
	v_fmac_f32_e32 v72, v32, v61
	v_fmac_f32_e32 v73, v31, v63
	;; [unrolled: 1-line block ×3, first 2 shown]
	v_fma_f32 v59, v27, v66, -v37
	v_add_f32_e32 v33, v70, v71
	v_mul_f32_e32 v66, 0x3f575c64, v23
	v_mul_f32_e32 v39, v39, v63
	;; [unrolled: 1-line block ×3, first 2 shown]
	v_fma_f32 v49, v30, v53, -v38
	v_fma_f32 v53, v32, v60, -v40
	v_fmac_f32_e32 v75, v26, v65
	v_fmac_f32_e32 v77, v27, v67
	v_fma_f32 v60, v28, v68, -v34
	v_sub_f32_e32 v47, v50, v52
	v_add_f32_e32 v34, v72, v73
	v_mul_f32_e32 v67, 0x3ed4b147, v33
	v_mov_b32_e32 v25, v66
	v_fma_f32 v51, v31, v62, -v39
	v_fma_f32 v54, v26, v64, -v36
	;; [unrolled: 1-line block ×3, first 2 shown]
	v_fmac_f32_e32 v76, v28, v69
	v_sub_f32_e32 v48, v49, v41
	v_add_f32_e32 v35, v74, v75
	v_sub_f32_e32 v37, v55, v43
	v_mul_f32_e32 v68, 0xbe11bafb, v34
	v_mov_b32_e32 v26, v67
	v_fmac_f32_e32 v25, 0x3f0a6770, v47
	v_sub_f32_e32 v61, v51, v53
	v_add_f32_e32 v36, v76, v77
	v_sub_f32_e32 v38, v71, v70
	v_mul_f32_e32 v69, 0xbf27a4f4, v35
	v_mul_f32_e32 v79, 0xbf0a6770, v37
	v_mov_b32_e32 v27, v68
	v_fmac_f32_e32 v26, 0x3f68dda4, v48
	v_add_f32_e32 v25, v24, v25
	v_sub_f32_e32 v62, v54, v58
	v_add_f32_e32 v64, v52, v50
	v_mul_f32_e32 v78, 0xbf75a155, v36
	v_mul_f32_e32 v80, 0xbf68dda4, v38
	v_mov_b32_e32 v28, v69
	v_mov_b32_e32 v30, v79
	v_fmac_f32_e32 v27, 0x3f7d64f0, v61
	v_add_f32_e32 v25, v25, v26
	v_sub_f32_e32 v39, v73, v72
	v_sub_f32_e32 v63, v59, v60
	v_add_f32_e32 v65, v41, v49
	v_mov_b32_e32 v29, v78
	v_mov_b32_e32 v31, v80
	v_fmac_f32_e32 v28, 0x3f4178ce, v62
	v_fmac_f32_e32 v30, 0x3f575c64, v64
	v_add_f32_e32 v25, v25, v27
	v_mul_f32_e32 v82, 0xbf7d64f0, v39
	v_fmac_f32_e32 v29, 0x3e903f40, v63
	v_fmac_f32_e32 v31, 0x3ed4b147, v65
	v_add_f32_e32 v30, v22, v30
	v_add_f32_e32 v25, v25, v28
	;; [unrolled: 1-line block ×3, first 2 shown]
	v_mov_b32_e32 v27, v82
	v_sub_f32_e32 v40, v75, v74
	v_add_f32_e32 v26, v25, v29
	v_add_f32_e32 v25, v30, v31
	v_fmac_f32_e32 v27, 0xbe11bafb, v81
	v_mul_f32_e32 v84, 0xbf4178ce, v40
	v_add_f32_e32 v25, v25, v27
	v_add_f32_e32 v83, v58, v54
	v_mov_b32_e32 v27, v84
	v_sub_f32_e32 v45, v77, v76
	v_fmac_f32_e32 v27, 0xbf27a4f4, v83
	v_mul_f32_e32 v86, 0xbe903f40, v45
	v_add_f32_e32 v25, v25, v27
	v_add_f32_e32 v85, v60, v59
	v_mov_b32_e32 v27, v86
	v_fmac_f32_e32 v27, 0xbf75a155, v85
	v_mul_f32_e32 v46, 0x3ed4b147, v23
	v_add_f32_e32 v25, v25, v27
	v_mov_b32_e32 v27, v46
	v_mul_f32_e32 v87, 0xbf27a4f4, v33
	v_fmac_f32_e32 v27, 0x3f68dda4, v47
	v_mov_b32_e32 v28, v87
	v_add_f32_e32 v27, v24, v27
	v_fmac_f32_e32 v28, 0x3f4178ce, v48
	v_mul_f32_e32 v88, 0xbf75a155, v34
	v_add_f32_e32 v27, v27, v28
	v_mov_b32_e32 v28, v88
	v_fmac_f32_e32 v28, 0xbe903f40, v61
	v_mul_f32_e32 v89, 0xbe11bafb, v35
	v_add_f32_e32 v27, v27, v28
	v_mov_b32_e32 v28, v89
	v_fmac_f32_e32 v28, 0xbf7d64f0, v62
	v_mul_f32_e32 v90, 0x3f575c64, v36
	v_add_f32_e32 v27, v27, v28
	v_mov_b32_e32 v28, v90
	v_fmac_f32_e32 v28, 0xbf0a6770, v63
	v_mul_f32_e32 v91, 0xbf68dda4, v37
	v_add_f32_e32 v28, v27, v28
	v_mov_b32_e32 v27, v91
	v_mul_f32_e32 v92, 0xbf4178ce, v38
	v_fmac_f32_e32 v27, 0x3ed4b147, v64
	v_mov_b32_e32 v29, v92
	v_add_f32_e32 v27, v22, v27
	v_fmac_f32_e32 v29, 0xbf27a4f4, v65
	v_mul_f32_e32 v93, 0x3e903f40, v39
	v_add_f32_e32 v27, v27, v29
	v_mov_b32_e32 v29, v93
	v_fmac_f32_e32 v29, 0xbf75a155, v81
	v_mul_f32_e32 v94, 0x3f7d64f0, v40
	v_add_f32_e32 v27, v27, v29
	v_mov_b32_e32 v29, v94
	v_fmac_f32_e32 v29, 0xbe11bafb, v83
	v_mul_f32_e32 v95, 0x3f0a6770, v45
	;; [unrolled: 20-line block ×5, first 2 shown]
	v_add_f32_e32 v31, v31, v32
	v_mov_b32_e32 v32, v110
	v_fmac_f32_e32 v32, 0xbf68dda4, v63
	v_mul_f32_e32 v111, 0xbf4178ce, v37
	v_add_f32_e32 v32, v31, v32
	v_mov_b32_e32 v31, v111
	v_mul_f32_e32 v112, 0x3f7d64f0, v38
	v_fmac_f32_e32 v31, 0xbf27a4f4, v64
	v_mov_b32_e32 v113, v112
	v_add_f32_e32 v31, v22, v31
	v_fmac_f32_e32 v113, 0xbe11bafb, v65
	v_add_f32_e32 v31, v31, v113
	v_mul_f32_e32 v113, 0xbf0a6770, v39
	v_mov_b32_e32 v114, v113
	v_fmac_f32_e32 v114, 0x3f575c64, v81
	v_add_f32_e32 v31, v31, v114
	v_mul_f32_e32 v114, 0xbe903f40, v40
	v_mov_b32_e32 v115, v114
	;; [unrolled: 4-line block ×3, first 2 shown]
	v_fmac_f32_e32 v116, 0x3ed4b147, v85
	v_mul_f32_e32 v23, 0xbf75a155, v23
	v_add_f32_e32 v31, v31, v116
	v_mov_b32_e32 v116, v23
	v_mul_f32_e32 v117, 0x3f575c64, v33
	v_fmac_f32_e32 v116, 0x3e903f40, v47
	v_mov_b32_e32 v33, v117
	v_add_f32_e32 v116, v24, v116
	v_fmac_f32_e32 v33, 0xbf0a6770, v48
	v_add_f32_e32 v33, v116, v33
	v_mul_f32_e32 v116, 0xbf27a4f4, v34
	v_mov_b32_e32 v34, v116
	v_fmac_f32_e32 v23, 0xbe903f40, v47
	v_fmac_f32_e32 v34, 0x3f4178ce, v61
	v_mul_f32_e32 v35, 0x3ed4b147, v35
	v_add_f32_e32 v23, v24, v23
	v_fmac_f32_e32 v117, 0x3f0a6770, v48
	v_add_f32_e32 v33, v33, v34
	v_mov_b32_e32 v34, v35
	v_add_f32_e32 v23, v23, v117
	v_fmac_f32_e32 v116, 0xbf4178ce, v61
	v_fmac_f32_e32 v34, 0xbf68dda4, v62
	v_mul_f32_e32 v36, 0xbe11bafb, v36
	v_add_f32_e32 v23, v23, v116
	v_fmac_f32_e32 v35, 0x3f68dda4, v62
	v_add_f32_e32 v33, v33, v34
	v_mov_b32_e32 v34, v36
	v_mul_f32_e32 v37, 0xbe903f40, v37
	v_add_f32_e32 v23, v23, v35
	v_fmac_f32_e32 v36, 0xbf7d64f0, v63
	v_mul_f32_e32 v38, 0x3f0a6770, v38
	v_add_f32_e32 v36, v23, v36
	v_fma_f32 v23, v64, s10, -v37
	v_mul_f32_e32 v39, 0xbf4178ce, v39
	v_add_f32_e32 v23, v22, v23
	v_fma_f32 v35, v65, s6, -v38
	;; [unrolled: 3-line block ×4, first 2 shown]
	v_add_f32_e32 v23, v23, v35
	v_fma_f32 v35, v85, s4, -v45
	v_fmac_f32_e32 v106, 0xbf4178ce, v47
	v_add_f32_e32 v35, v23, v35
	v_add_f32_e32 v23, v24, v106
	v_fmac_f32_e32 v107, 0x3f7d64f0, v48
	v_add_f32_e32 v23, v23, v107
	v_fmac_f32_e32 v108, 0xbf0a6770, v61
	v_add_f32_e32 v23, v23, v108
	v_fmac_f32_e32 v109, 0xbe903f40, v62
	v_add_f32_e32 v23, v23, v109
	v_fmac_f32_e32 v110, 0x3f68dda4, v63
	v_fmac_f32_e32 v34, 0x3f7d64f0, v63
	v_mov_b32_e32 v118, v38
	v_add_f32_e32 v38, v23, v110
	v_fma_f32 v23, v64, s7, -v111
	v_add_f32_e32 v34, v33, v34
	v_mov_b32_e32 v33, v37
	v_add_f32_e32 v23, v22, v23
	v_fma_f32 v37, v65, s4, -v112
	v_add_f32_e32 v23, v23, v37
	v_fma_f32 v37, v81, s6, -v113
	v_add_f32_e32 v23, v23, v37
	v_fma_f32 v37, v83, s10, -v114
	v_add_f32_e32 v23, v23, v37
	v_fma_f32 v37, v85, s5, -v115
	v_fmac_f32_e32 v96, 0xbf7d64f0, v47
	v_fmac_f32_e32 v33, 0xbf75a155, v64
	v_add_f32_e32 v37, v23, v37
	v_add_f32_e32 v23, v24, v96
	v_fmac_f32_e32 v97, 0x3e903f40, v48
	v_add_f32_e32 v33, v22, v33
	v_fmac_f32_e32 v118, 0x3f575c64, v65
	;; [unrolled: 2-line block ×3, first 2 shown]
	v_add_f32_e32 v33, v33, v118
	v_mov_b32_e32 v118, v39
	v_add_f32_e32 v23, v23, v98
	v_fmac_f32_e32 v99, 0xbf0a6770, v62
	v_fmac_f32_e32 v118, 0xbf27a4f4, v81
	v_add_f32_e32 v23, v23, v99
	v_fmac_f32_e32 v100, 0xbf4178ce, v63
	v_add_f32_e32 v33, v33, v118
	v_mov_b32_e32 v118, v40
	v_add_f32_e32 v40, v23, v100
	v_fma_f32 v23, v64, s4, -v101
	v_add_f32_e32 v23, v22, v23
	v_fma_f32 v39, v65, s10, -v102
	v_add_f32_e32 v23, v23, v39
	v_fma_f32 v39, v81, s5, -v103
	v_add_f32_e32 v23, v23, v39
	v_fma_f32 v39, v83, s6, -v104
	v_add_f32_e32 v23, v23, v39
	v_fma_f32 v39, v85, s7, -v105
	v_fmac_f32_e32 v46, 0xbf68dda4, v47
	v_add_f32_e32 v39, v23, v39
	v_add_f32_e32 v23, v24, v46
	v_fmac_f32_e32 v87, 0xbf4178ce, v48
	v_add_f32_e32 v23, v23, v87
	v_fmac_f32_e32 v88, 0x3e903f40, v61
	;; [unrolled: 2-line block ×4, first 2 shown]
	v_fmac_f32_e32 v118, 0x3ed4b147, v83
	v_add_f32_e32 v46, v23, v90
	v_fma_f32 v23, v64, s5, -v91
	v_add_f32_e32 v33, v33, v118
	v_mov_b32_e32 v118, v45
	v_add_f32_e32 v23, v22, v23
	v_fma_f32 v45, v65, s7, -v92
	v_add_f32_e32 v23, v23, v45
	v_fma_f32 v45, v81, s10, -v93
	;; [unrolled: 2-line block ×4, first 2 shown]
	v_fmac_f32_e32 v66, 0xbf0a6770, v47
	v_add_f32_e32 v45, v23, v45
	v_add_f32_e32 v23, v24, v66
	v_fmac_f32_e32 v67, 0xbf68dda4, v48
	v_add_f32_e32 v23, v23, v67
	v_fmac_f32_e32 v68, 0xbf7d64f0, v61
	;; [unrolled: 2-line block ×4, first 2 shown]
	v_add_f32_e32 v48, v23, v78
	v_fma_f32 v23, v64, s6, -v79
	v_add_f32_e32 v23, v22, v23
	v_fma_f32 v47, v65, s5, -v80
	;; [unrolled: 2-line block ×5, first 2 shown]
	v_add_f32_e32 v47, v23, v47
	v_add_f32_e32 v23, v24, v55
	;; [unrolled: 1-line block ×10, first 2 shown]
	v_mad_u64_u32 v[49:50], s[14:15], s2, v56, 0
	v_add_f32_e32 v23, v74, v23
	v_add_f32_e32 v22, v22, v54
	;; [unrolled: 1-line block ×8, first 2 shown]
	v_mov_b32_e32 v22, v50
	v_mad_u64_u32 v[50:51], s[14:15], s3, v56, v[22:23]
	v_add_f32_e32 v22, v53, v24
	v_add_f32_e32 v22, v41, v22
	v_add_u32_e32 v41, 0x54, v56
	v_add_f32_e32 v22, v52, v22
	v_mov_b32_e32 v24, s13
	v_mad_u64_u32 v[51:52], s[12:13], s2, v41, 0
	v_addc_co_u32_e32 v1, vcc, v24, v1, vcc
	v_mov_b32_e32 v24, v52
	v_lshlrev_b64 v[49:50], 3, v[49:50]
	v_mad_u64_u32 v[52:53], s[12:13], s3, v41, v[24:25]
	v_add_u32_e32 v41, 0xa8, v56
	v_add_co_u32_e32 v49, vcc, v0, v49
	v_mad_u64_u32 v[53:54], s[12:13], s2, v41, 0
	v_addc_co_u32_e32 v50, vcc, v1, v50, vcc
	global_store_dwordx2 v[49:50], v[22:23], off
	v_lshlrev_b64 v[22:23], 3, v[51:52]
	v_mov_b32_e32 v24, v54
	v_add_co_u32_e32 v22, vcc, v0, v22
	v_mad_u64_u32 v[49:50], s[12:13], s3, v41, v[24:25]
	v_addc_co_u32_e32 v23, vcc, v1, v23, vcc
	v_add_u32_e32 v41, 0xfc, v56
	global_store_dwordx2 v[22:23], v[47:48], off
	v_mad_u64_u32 v[47:48], s[12:13], s2, v41, 0
	v_mov_b32_e32 v54, v49
	v_lshlrev_b64 v[22:23], 3, v[53:54]
	v_mov_b32_e32 v24, v48
	v_mad_u64_u32 v[48:49], s[12:13], s3, v41, v[24:25]
	v_add_u32_e32 v41, 0x150, v56
	v_add_co_u32_e32 v22, vcc, v0, v22
	v_mad_u64_u32 v[49:50], s[12:13], s2, v41, 0
	v_addc_co_u32_e32 v23, vcc, v1, v23, vcc
	global_store_dwordx2 v[22:23], v[45:46], off
	v_lshlrev_b64 v[22:23], 3, v[47:48]
	v_mov_b32_e32 v24, v50
	v_add_co_u32_e32 v22, vcc, v0, v22
	v_mad_u64_u32 v[45:46], s[12:13], s3, v41, v[24:25]
	v_addc_co_u32_e32 v23, vcc, v1, v23, vcc
	v_add_u32_e32 v41, 0x1a4, v56
	global_store_dwordx2 v[22:23], v[39:40], off
	v_mad_u64_u32 v[39:40], s[12:13], s2, v41, 0
	v_mov_b32_e32 v50, v45
	v_lshlrev_b64 v[22:23], 3, v[49:50]
	v_mov_b32_e32 v24, v40
	v_mad_u64_u32 v[40:41], s[12:13], s3, v41, v[24:25]
	v_add_u32_e32 v41, 0x1f8, v56
	v_mad_u64_u32 v[45:46], s[12:13], s2, v41, 0
	v_add_co_u32_e32 v22, vcc, v0, v22
	v_addc_co_u32_e32 v23, vcc, v1, v23, vcc
	v_mov_b32_e32 v24, v46
	global_store_dwordx2 v[22:23], v[37:38], off
	v_mad_u64_u32 v[37:38], s[12:13], s3, v41, v[24:25]
	v_lshlrev_b64 v[22:23], 3, v[39:40]
	v_add_u32_e32 v39, 0x2a0, v56
	v_add_co_u32_e32 v22, vcc, v0, v22
	v_addc_co_u32_e32 v23, vcc, v1, v23, vcc
	v_mov_b32_e32 v46, v37
	v_add_u32_e32 v37, 0x24c, v56
	global_store_dwordx2 v[22:23], v[35:36], off
	v_mad_u64_u32 v[35:36], s[12:13], s2, v37, 0
	v_lshlrev_b64 v[22:23], 3, v[45:46]
	v_fmac_f32_e32 v118, 0xbe11bafb, v85
	v_mov_b32_e32 v24, v36
	v_mad_u64_u32 v[36:37], s[12:13], s3, v37, v[24:25]
	v_mad_u64_u32 v[37:38], s[12:13], s2, v39, 0
	v_add_co_u32_e32 v22, vcc, v0, v22
	v_add_f32_e32 v33, v33, v118
	v_addc_co_u32_e32 v23, vcc, v1, v23, vcc
	v_mov_b32_e32 v24, v38
	global_store_dwordx2 v[22:23], v[33:34], off
	v_mad_u64_u32 v[33:34], s[12:13], s3, v39, v[24:25]
	v_lshlrev_b64 v[22:23], 3, v[35:36]
	v_add_u32_e32 v35, 0x348, v56
	v_add_co_u32_e32 v22, vcc, v0, v22
	v_addc_co_u32_e32 v23, vcc, v1, v23, vcc
	v_mov_b32_e32 v38, v33
	v_add_u32_e32 v33, 0x2f4, v56
	global_store_dwordx2 v[22:23], v[31:32], off
	v_mad_u64_u32 v[31:32], s[12:13], s2, v33, 0
	v_lshlrev_b64 v[22:23], 3, v[37:38]
	v_mov_b32_e32 v24, v32
	v_mad_u64_u32 v[32:33], s[12:13], s3, v33, v[24:25]
	v_mad_u64_u32 v[33:34], s[12:13], s2, v35, 0
	v_add_co_u32_e32 v22, vcc, v0, v22
	v_addc_co_u32_e32 v23, vcc, v1, v23, vcc
	v_mov_b32_e32 v24, v34
	global_store_dwordx2 v[22:23], v[29:30], off
	v_mad_u64_u32 v[29:30], s[12:13], s3, v35, v[24:25]
	v_lshlrev_b64 v[22:23], 3, v[31:32]
	v_add_co_u32_e32 v22, vcc, v0, v22
	v_addc_co_u32_e32 v23, vcc, v1, v23, vcc
	v_mov_b32_e32 v34, v29
	global_store_dwordx2 v[22:23], v[27:28], off
	v_lshlrev_b64 v[22:23], 3, v[33:34]
	v_add_co_u32_e32 v22, vcc, v0, v22
	v_addc_co_u32_e32 v23, vcc, v1, v23, vcc
	global_store_dwordx2 v[22:23], v[25:26], off
	s_and_b64 exec, exec, s[0:1]
	s_cbranch_execz .LBB0_34
; %bb.33:
	v_subrev_u32_e32 v22, 40, v56
	v_cndmask_b32_e64 v22, v22, v57, s[0:1]
	v_mul_i32_i24_e32 v22, 10, v22
	v_mov_b32_e32 v23, 0
	v_lshlrev_b64 v[22:23], 3, v[22:23]
	v_mov_b32_e32 v24, s9
	v_add_co_u32_e32 v45, vcc, s8, v22
	v_addc_co_u32_e32 v46, vcc, v24, v23, vcc
	global_load_dwordx4 v[22:25], v[45:46], off offset:656
	global_load_dwordx4 v[26:29], v[45:46], off offset:672
	;; [unrolled: 1-line block ×5, first 2 shown]
	s_waitcnt vmcnt(4)
	v_mul_f32_e32 v43, v14, v23
	v_mul_f32_e32 v23, v6, v23
	;; [unrolled: 1-line block ×4, first 2 shown]
	s_waitcnt vmcnt(0)
	v_mul_f32_e32 v52, v4, v39
	v_mul_f32_e32 v39, v2, v39
	;; [unrolled: 1-line block ×3, first 2 shown]
	v_fma_f32 v6, v6, v22, -v43
	v_fmac_f32_e32 v23, v14, v22
	v_mul_f32_e32 v46, v16, v27
	v_mul_f32_e32 v27, v8, v27
	;; [unrolled: 1-line block ×3, first 2 shown]
	v_fma_f32 v7, v7, v24, -v45
	v_fmac_f32_e32 v25, v15, v24
	v_fma_f32 v14, v2, v38, -v52
	v_fmac_f32_e32 v39, v4, v38
	v_fma_f32 v2, v3, v40, -v53
	v_add_f32_e32 v3, v42, v6
	v_add_f32_e32 v4, v44, v23
	v_mul_f32_e32 v47, v17, v29
	v_mul_f32_e32 v29, v9, v29
	v_fma_f32 v8, v8, v26, -v46
	v_fmac_f32_e32 v27, v16, v26
	v_add_f32_e32 v3, v3, v7
	v_add_f32_e32 v4, v4, v25
	v_mul_f32_e32 v48, v18, v31
	v_mul_f32_e32 v31, v10, v31
	v_fma_f32 v9, v9, v28, -v47
	v_fmac_f32_e32 v29, v17, v28
	v_add_f32_e32 v3, v3, v8
	v_add_f32_e32 v4, v4, v27
	v_mul_f32_e32 v49, v19, v33
	v_mul_f32_e32 v33, v11, v33
	v_fma_f32 v10, v10, v30, -v48
	v_fmac_f32_e32 v31, v18, v30
	v_add_f32_e32 v3, v3, v9
	v_add_f32_e32 v4, v4, v29
	v_mul_f32_e32 v50, v20, v35
	v_mul_f32_e32 v35, v12, v35
	v_fma_f32 v11, v11, v32, -v49
	v_fmac_f32_e32 v33, v19, v32
	v_add_f32_e32 v3, v3, v10
	v_add_f32_e32 v4, v4, v31
	v_mul_f32_e32 v51, v21, v37
	v_mul_f32_e32 v37, v13, v37
	v_fma_f32 v12, v12, v34, -v50
	v_fmac_f32_e32 v35, v20, v34
	v_add_f32_e32 v3, v3, v11
	v_add_f32_e32 v4, v4, v33
	v_fma_f32 v13, v13, v36, -v51
	v_fmac_f32_e32 v37, v21, v36
	v_fmac_f32_e32 v41, v5, v40
	v_add_f32_e32 v5, v6, v2
	v_sub_f32_e32 v6, v6, v2
	v_add_f32_e32 v3, v3, v12
	v_add_f32_e32 v4, v4, v35
	;; [unrolled: 1-line block ×3, first 2 shown]
	v_mul_f32_e32 v20, 0xbf68dda4, v6
	v_add_f32_e32 v3, v3, v13
	v_add_f32_e32 v4, v4, v37
	v_sub_f32_e32 v16, v23, v41
	v_mul_f32_e32 v18, 0xbf0a6770, v6
	v_fma_f32 v24, v15, s5, -v20
	v_add_f32_e32 v3, v3, v14
	v_add_f32_e32 v4, v4, v39
	v_mul_f32_e32 v28, 0xbf7d64f0, v6
	v_mul_f32_e32 v36, 0xbf4178ce, v6
	;; [unrolled: 1-line block ×5, first 2 shown]
	v_add_f32_e32 v2, v3, v2
	v_add_f32_e32 v3, v4, v41
	;; [unrolled: 1-line block ×3, first 2 shown]
	v_mul_f32_e32 v24, 0xbf7d64f0, v16
	v_mul_f32_e32 v32, 0xbf4178ce, v16
	;; [unrolled: 1-line block ×3, first 2 shown]
	v_mov_b32_e32 v41, v6
	v_fma_f32 v22, v15, s6, -v18
	v_fmac_f32_e32 v18, 0x3f575c64, v15
	v_fmac_f32_e32 v20, 0x3ed4b147, v15
	v_fma_f32 v30, v15, s4, -v28
	v_fmac_f32_e32 v28, 0xbe11bafb, v15
	v_fma_f32 v38, v15, s7, -v36
	;; [unrolled: 2-line block ×3, first 2 shown]
	v_fmac_f32_e32 v41, 0xbf75a155, v15
	v_fmac_f32_e32 v16, 0xbf75a155, v5
	v_fma_f32 v6, v15, s10, -v6
	v_add_f32_e32 v15, v7, v14
	v_sub_f32_e32 v7, v7, v14
	v_sub_f32_e32 v14, v25, v39
	v_fma_f32 v21, v5, s6, -v17
	v_fmac_f32_e32 v17, 0x3f575c64, v5
	v_fma_f32 v23, v5, s5, -v19
	v_fmac_f32_e32 v19, 0x3ed4b147, v5
	v_fma_f32 v26, v5, s4, -v24
	v_fmac_f32_e32 v24, 0xbe11bafb, v5
	v_fma_f32 v34, v5, s7, -v32
	v_fmac_f32_e32 v32, 0xbf27a4f4, v5
	v_add_f32_e32 v5, v42, v16
	v_add_f32_e32 v16, v25, v39
	v_mul_f32_e32 v25, 0xbf68dda4, v14
	v_add_f32_e32 v21, v42, v21
	v_fma_f32 v39, v15, s5, -v25
	v_add_f32_e32 v17, v42, v17
	v_add_f32_e32 v21, v39, v21
	v_mul_f32_e32 v39, 0xbf68dda4, v7
	v_fmac_f32_e32 v25, 0x3ed4b147, v15
	v_add_f32_e32 v18, v44, v18
	v_add_f32_e32 v23, v42, v23
	v_add_f32_e32 v19, v42, v19
	v_add_f32_e32 v26, v42, v26
	v_add_f32_e32 v24, v42, v24
	v_add_f32_e32 v34, v42, v34
	v_add_f32_e32 v32, v42, v32
	v_add_f32_e32 v40, v42, v40
	v_fma_f32 v42, v16, s5, -v39
	v_fmac_f32_e32 v39, 0x3ed4b147, v16
	v_add_f32_e32 v17, v25, v17
	v_mul_f32_e32 v25, 0xbf4178ce, v14
	v_add_f32_e32 v18, v39, v18
	v_fma_f32 v39, v15, s7, -v25
	v_add_f32_e32 v22, v44, v22
	v_add_f32_e32 v23, v39, v23
	v_mul_f32_e32 v39, 0xbf4178ce, v7
	v_fmac_f32_e32 v25, 0xbf27a4f4, v15
	v_add_f32_e32 v20, v44, v20
	v_add_f32_e32 v22, v42, v22
	v_fma_f32 v42, v16, s7, -v39
	v_fmac_f32_e32 v39, 0xbf27a4f4, v16
	v_add_f32_e32 v19, v25, v19
	v_mul_f32_e32 v25, 0x3e903f40, v14
	v_add_f32_e32 v20, v39, v20
	v_fma_f32 v39, v15, s10, -v25
	v_add_f32_e32 v26, v39, v26
	v_mul_f32_e32 v39, 0x3e903f40, v7
	v_add_f32_e32 v30, v44, v30
	v_add_f32_e32 v4, v42, v4
	v_fma_f32 v42, v16, s10, -v39
	v_fmac_f32_e32 v25, 0xbf75a155, v15
	v_add_f32_e32 v28, v44, v28
	v_fmac_f32_e32 v39, 0xbf75a155, v16
	v_add_f32_e32 v24, v25, v24
	v_add_f32_e32 v25, v42, v30
	v_mul_f32_e32 v30, 0x3f7d64f0, v14
	v_add_f32_e32 v28, v39, v28
	v_fma_f32 v39, v15, s4, -v30
	v_add_f32_e32 v34, v39, v34
	v_mul_f32_e32 v39, 0x3f7d64f0, v7
	v_add_f32_e32 v36, v44, v36
	v_fma_f32 v42, v16, s4, -v39
	v_fmac_f32_e32 v39, 0xbe11bafb, v16
	v_mul_f32_e32 v7, 0x3f0a6770, v7
	v_add_f32_e32 v6, v44, v6
	v_add_f32_e32 v36, v39, v36
	v_mov_b32_e32 v39, v7
	v_fma_f32 v7, v16, s6, -v7
	v_add_f32_e32 v38, v44, v38
	v_fmac_f32_e32 v30, 0xbe11bafb, v15
	v_mul_f32_e32 v14, 0x3f0a6770, v14
	v_add_f32_e32 v6, v7, v6
	v_add_f32_e32 v7, v8, v13
	v_sub_f32_e32 v8, v8, v13
	v_sub_f32_e32 v13, v27, v37
	v_add_f32_e32 v30, v30, v32
	v_add_f32_e32 v32, v42, v38
	v_fma_f32 v38, v15, s6, -v14
	v_fmac_f32_e32 v14, 0x3f575c64, v15
	v_mul_f32_e32 v15, 0xbf7d64f0, v13
	v_fmac_f32_e32 v39, 0x3f575c64, v16
	v_fma_f32 v16, v7, s4, -v15
	v_add_f32_e32 v5, v14, v5
	v_add_f32_e32 v14, v27, v37
	v_add_f32_e32 v16, v16, v21
	v_mul_f32_e32 v21, 0xbf7d64f0, v8
	v_fma_f32 v27, v14, s4, -v21
	v_fmac_f32_e32 v21, 0xbe11bafb, v14
	v_add_f32_e32 v18, v21, v18
	v_fmac_f32_e32 v15, 0xbe11bafb, v7
	v_mul_f32_e32 v21, 0x3e903f40, v13
	v_add_f32_e32 v15, v15, v17
	v_add_f32_e32 v17, v27, v22
	v_fma_f32 v22, v7, s10, -v21
	v_add_f32_e32 v22, v22, v23
	v_mul_f32_e32 v23, 0x3e903f40, v8
	v_fmac_f32_e32 v21, 0xbf75a155, v7
	v_fma_f32 v27, v14, s10, -v23
	v_fmac_f32_e32 v23, 0xbf75a155, v14
	v_add_f32_e32 v19, v21, v19
	v_mul_f32_e32 v21, 0x3f68dda4, v13
	v_add_f32_e32 v20, v23, v20
	v_fma_f32 v23, v7, s5, -v21
	v_add_f32_e32 v23, v23, v26
	v_mul_f32_e32 v26, 0x3f68dda4, v8
	v_add_f32_e32 v4, v27, v4
	v_fma_f32 v27, v14, s5, -v26
	v_fmac_f32_e32 v21, 0x3ed4b147, v7
	v_fmac_f32_e32 v26, 0x3ed4b147, v14
	v_add_f32_e32 v21, v21, v24
	v_add_f32_e32 v24, v27, v25
	v_mul_f32_e32 v25, 0xbf0a6770, v13
	v_add_f32_e32 v26, v26, v28
	v_fma_f32 v27, v7, s6, -v25
	v_mul_f32_e32 v28, 0xbf0a6770, v8
	v_add_f32_e32 v27, v27, v34
	v_fma_f32 v34, v14, s6, -v28
	v_fmac_f32_e32 v25, 0x3f575c64, v7
	v_mul_f32_e32 v13, 0xbf4178ce, v13
	v_mul_f32_e32 v8, 0xbf4178ce, v8
	v_add_f32_e32 v25, v25, v30
	v_add_f32_e32 v30, v34, v32
	v_fma_f32 v32, v7, s7, -v13
	v_fmac_f32_e32 v13, 0xbf27a4f4, v7
	v_fma_f32 v7, v14, s7, -v8
	v_add_f32_e32 v6, v7, v6
	v_add_f32_e32 v7, v9, v12
	v_sub_f32_e32 v9, v9, v12
	v_sub_f32_e32 v12, v29, v35
	v_mov_b32_e32 v34, v8
	v_add_f32_e32 v5, v13, v5
	v_mul_f32_e32 v13, 0xbf4178ce, v12
	v_fmac_f32_e32 v28, 0x3f575c64, v14
	v_fmac_f32_e32 v34, 0xbf27a4f4, v14
	v_fma_f32 v14, v7, s7, -v13
	v_add_f32_e32 v8, v29, v35
	v_add_f32_e32 v14, v14, v16
	v_mul_f32_e32 v16, 0xbf4178ce, v9
	v_fma_f32 v29, v8, s7, -v16
	v_fmac_f32_e32 v13, 0xbf27a4f4, v7
	v_fmac_f32_e32 v16, 0xbf27a4f4, v8
	v_add_f32_e32 v13, v13, v15
	v_add_f32_e32 v15, v29, v17
	v_mul_f32_e32 v17, 0x3f7d64f0, v12
	v_add_f32_e32 v16, v16, v18
	v_fma_f32 v18, v7, s4, -v17
	v_add_f32_e32 v18, v18, v22
	v_mul_f32_e32 v22, 0x3f7d64f0, v9
	v_fma_f32 v29, v8, s4, -v22
	v_fmac_f32_e32 v17, 0xbe11bafb, v7
	v_fmac_f32_e32 v22, 0xbe11bafb, v8
	v_add_f32_e32 v17, v17, v19
	v_add_f32_e32 v19, v29, v4
	v_mul_f32_e32 v4, 0xbf0a6770, v12
	v_add_f32_e32 v20, v22, v20
	v_fma_f32 v22, v7, s6, -v4
	v_add_f32_e32 v22, v22, v23
	v_mul_f32_e32 v23, 0xbf0a6770, v9
	v_fmac_f32_e32 v4, 0x3f575c64, v7
	v_fma_f32 v29, v8, s6, -v23
	v_fmac_f32_e32 v23, 0x3f575c64, v8
	v_add_f32_e32 v21, v4, v21
	v_mul_f32_e32 v4, 0xbe903f40, v12
	v_add_f32_e32 v23, v23, v26
	v_fma_f32 v26, v7, s10, -v4
	v_fmac_f32_e32 v4, 0xbf75a155, v7
	v_add_f32_e32 v38, v38, v40
	v_add_f32_e32 v26, v26, v27
	v_mul_f32_e32 v27, 0xbe903f40, v9
	v_add_f32_e32 v25, v4, v25
	v_mul_f32_e32 v4, 0x3f68dda4, v12
	v_add_f32_e32 v41, v44, v41
	v_add_f32_e32 v28, v28, v36
	;; [unrolled: 1-line block ×4, first 2 shown]
	v_fma_f32 v29, v8, s10, -v27
	v_fmac_f32_e32 v27, 0xbf75a155, v8
	v_fma_f32 v12, v7, s5, -v4
	v_mul_f32_e32 v9, 0x3f68dda4, v9
	v_add_f32_e32 v39, v39, v41
	v_add_f32_e32 v27, v27, v28
	;; [unrolled: 1-line block ×4, first 2 shown]
	v_mov_b32_e32 v12, v9
	v_fmac_f32_e32 v4, 0x3ed4b147, v7
	v_add_f32_e32 v34, v34, v39
	v_fmac_f32_e32 v12, 0x3ed4b147, v8
	v_add_f32_e32 v32, v4, v5
	v_fma_f32 v4, v8, s5, -v9
	v_add_f32_e32 v36, v31, v33
	v_sub_f32_e32 v31, v31, v33
	v_add_f32_e32 v30, v12, v34
	v_add_f32_e32 v34, v4, v6
	;; [unrolled: 1-line block ×3, first 2 shown]
	v_sub_f32_e32 v37, v10, v11
	v_mul_f32_e32 v6, 0xbe903f40, v31
	v_fma_f32 v4, v35, s10, -v6
	v_mul_f32_e32 v5, 0xbe903f40, v37
	v_fmac_f32_e32 v6, 0xbf75a155, v35
	v_fma_f32 v7, v36, s10, -v5
	v_add_f32_e32 v6, v6, v13
	v_mul_f32_e32 v13, 0xbf4178ce, v37
	v_add_f32_e32 v4, v4, v14
	v_add_f32_e32 v7, v7, v15
	v_mul_f32_e32 v14, 0xbf4178ce, v31
	v_fma_f32 v15, v36, s7, -v13
	v_mul_f32_e32 v10, 0x3f0a6770, v31
	v_fma_f32 v12, v35, s7, -v14
	v_fmac_f32_e32 v13, 0xbf27a4f4, v36
	v_add_f32_e32 v15, v15, v24
	v_add_u32_e32 v24, 44, v56
	v_fma_f32 v8, v35, s6, -v10
	v_add_f32_e32 v12, v12, v22
	v_add_f32_e32 v13, v13, v23
	v_mad_u64_u32 v[22:23], s[0:1], s2, v24, 0
	v_fmac_f32_e32 v5, 0xbf75a155, v36
	v_add_f32_e32 v8, v8, v18
	v_mul_f32_e32 v9, 0x3f0a6770, v37
	v_fmac_f32_e32 v10, 0x3f575c64, v35
	v_mul_f32_e32 v18, 0x3f68dda4, v31
	v_add_f32_e32 v5, v5, v16
	v_fma_f32 v11, v36, s6, -v9
	v_add_f32_e32 v10, v10, v17
	v_fma_f32 v16, v35, s5, -v18
	v_mul_f32_e32 v17, 0x3f68dda4, v37
	v_fmac_f32_e32 v18, 0x3ed4b147, v35
	v_fmac_f32_e32 v9, 0x3f575c64, v36
	v_add_f32_e32 v11, v11, v19
	v_fma_f32 v19, v36, s5, -v17
	v_add_f32_e32 v18, v18, v25
	v_mul_f32_e32 v25, 0xbf7d64f0, v31
	v_add_f32_e32 v9, v9, v20
	v_fmac_f32_e32 v14, 0xbf27a4f4, v35
	v_add_f32_e32 v16, v16, v26
	v_fmac_f32_e32 v17, 0x3ed4b147, v36
	v_add_f32_e32 v19, v19, v28
	v_fma_f32 v20, v35, s4, -v25
	v_mul_f32_e32 v26, 0xbf7d64f0, v37
	v_fmac_f32_e32 v25, 0xbe11bafb, v35
	v_mad_u64_u32 v[23:24], s[0:1], s3, v24, v[23:24]
	v_or_b32_e32 v28, 0x80, v56
	v_add_f32_e32 v14, v14, v21
	v_add_f32_e32 v17, v17, v27
	v_mov_b32_e32 v21, v26
	v_add_f32_e32 v24, v25, v32
	v_fma_f32 v25, v36, s4, -v26
	v_mad_u64_u32 v[26:27], s[0:1], s2, v28, 0
	v_fmac_f32_e32 v21, 0xbe11bafb, v36
	v_add_f32_e32 v21, v21, v30
	v_mad_u64_u32 v[27:28], s[0:1], s3, v28, v[27:28]
	v_add_u32_e32 v30, 0xd4, v56
	v_add_f32_e32 v20, v20, v29
	v_lshlrev_b64 v[22:23], 3, v[22:23]
	v_mad_u64_u32 v[28:29], s[0:1], s2, v30, 0
	v_add_co_u32_e32 v22, vcc, v0, v22
	v_addc_co_u32_e32 v23, vcc, v1, v23, vcc
	global_store_dwordx2 v[22:23], v[2:3], off
	v_mov_b32_e32 v22, v29
	v_mad_u64_u32 v[22:23], s[0:1], s3, v30, v[22:23]
	v_lshlrev_b64 v[2:3], 3, v[26:27]
	v_add_f32_e32 v25, v25, v34
	v_add_co_u32_e32 v2, vcc, v0, v2
	v_addc_co_u32_e32 v3, vcc, v1, v3, vcc
	v_mov_b32_e32 v29, v22
	v_add_u32_e32 v22, 0x128, v56
	global_store_dwordx2 v[2:3], v[4:5], off
	v_mad_u64_u32 v[4:5], s[0:1], s2, v22, 0
	v_lshlrev_b64 v[2:3], 3, v[28:29]
	v_mad_u64_u32 v[22:23], s[0:1], s3, v22, v[5:6]
	v_add_u32_e32 v23, 0x17c, v56
	v_mad_u64_u32 v[26:27], s[0:1], s2, v23, 0
	v_add_co_u32_e32 v2, vcc, v0, v2
	v_addc_co_u32_e32 v3, vcc, v1, v3, vcc
	v_mov_b32_e32 v5, v22
	global_store_dwordx2 v[2:3], v[8:9], off
	v_lshlrev_b64 v[2:3], 3, v[4:5]
	v_mov_b32_e32 v4, v27
	v_mad_u64_u32 v[4:5], s[0:1], s3, v23, v[4:5]
	v_add_u32_e32 v8, 0x1d0, v56
	v_add_co_u32_e32 v2, vcc, v0, v2
	v_mov_b32_e32 v27, v4
	v_mad_u64_u32 v[4:5], s[0:1], s2, v8, 0
	v_addc_co_u32_e32 v3, vcc, v1, v3, vcc
	v_mad_u64_u32 v[8:9], s[0:1], s3, v8, v[5:6]
	v_add_u32_e32 v9, 0x224, v56
	global_store_dwordx2 v[2:3], v[12:13], off
	v_lshlrev_b64 v[2:3], 3, v[26:27]
	v_mad_u64_u32 v[12:13], s[0:1], s2, v9, 0
	v_add_co_u32_e32 v2, vcc, v0, v2
	v_addc_co_u32_e32 v3, vcc, v1, v3, vcc
	v_mov_b32_e32 v5, v8
	global_store_dwordx2 v[2:3], v[16:17], off
	v_lshlrev_b64 v[2:3], 3, v[4:5]
	v_mov_b32_e32 v4, v13
	v_mad_u64_u32 v[4:5], s[0:1], s3, v9, v[4:5]
	v_add_u32_e32 v8, 0x278, v56
	v_add_co_u32_e32 v2, vcc, v0, v2
	v_mov_b32_e32 v13, v4
	v_mad_u64_u32 v[4:5], s[0:1], s2, v8, 0
	v_addc_co_u32_e32 v3, vcc, v1, v3, vcc
	v_mad_u64_u32 v[8:9], s[0:1], s3, v8, v[5:6]
	v_add_u32_e32 v9, 0x2cc, v56
	global_store_dwordx2 v[2:3], v[20:21], off
	v_lshlrev_b64 v[2:3], 3, v[12:13]
	;; [unrolled: 17-line block ×3, first 2 shown]
	v_mad_u64_u32 v[12:13], s[0:1], s2, v9, 0
	v_add_co_u32_e32 v2, vcc, v0, v2
	v_addc_co_u32_e32 v3, vcc, v1, v3, vcc
	v_mov_b32_e32 v5, v8
	global_store_dwordx2 v[2:3], v[14:15], off
	v_lshlrev_b64 v[2:3], 3, v[4:5]
	v_mov_b32_e32 v4, v13
	v_mad_u64_u32 v[4:5], s[0:1], s3, v9, v[4:5]
	v_add_co_u32_e32 v2, vcc, v0, v2
	v_addc_co_u32_e32 v3, vcc, v1, v3, vcc
	v_mov_b32_e32 v13, v4
	global_store_dwordx2 v[2:3], v[10:11], off
	v_lshlrev_b64 v[2:3], 3, v[12:13]
	v_add_co_u32_e32 v0, vcc, v0, v2
	v_addc_co_u32_e32 v1, vcc, v1, v3, vcc
	global_store_dwordx2 v[0:1], v[6:7], off
.LBB0_34:
	s_endpgm
	.section	.rodata,"a",@progbits
	.p2align	6, 0x0
	.amdhsa_kernel fft_rtc_fwd_len924_factors_2_2_3_7_11_wgs_44_tpt_44_halfLds_sp_ip_CI_sbrr_dirReg
		.amdhsa_group_segment_fixed_size 0
		.amdhsa_private_segment_fixed_size 0
		.amdhsa_kernarg_size 88
		.amdhsa_user_sgpr_count 6
		.amdhsa_user_sgpr_private_segment_buffer 1
		.amdhsa_user_sgpr_dispatch_ptr 0
		.amdhsa_user_sgpr_queue_ptr 0
		.amdhsa_user_sgpr_kernarg_segment_ptr 1
		.amdhsa_user_sgpr_dispatch_id 0
		.amdhsa_user_sgpr_flat_scratch_init 0
		.amdhsa_user_sgpr_private_segment_size 0
		.amdhsa_uses_dynamic_stack 0
		.amdhsa_system_sgpr_private_segment_wavefront_offset 0
		.amdhsa_system_sgpr_workgroup_id_x 1
		.amdhsa_system_sgpr_workgroup_id_y 0
		.amdhsa_system_sgpr_workgroup_id_z 0
		.amdhsa_system_sgpr_workgroup_info 0
		.amdhsa_system_vgpr_workitem_id 0
		.amdhsa_next_free_vgpr 119
		.amdhsa_next_free_sgpr 24
		.amdhsa_reserve_vcc 1
		.amdhsa_reserve_flat_scratch 0
		.amdhsa_float_round_mode_32 0
		.amdhsa_float_round_mode_16_64 0
		.amdhsa_float_denorm_mode_32 3
		.amdhsa_float_denorm_mode_16_64 3
		.amdhsa_dx10_clamp 1
		.amdhsa_ieee_mode 1
		.amdhsa_fp16_overflow 0
		.amdhsa_exception_fp_ieee_invalid_op 0
		.amdhsa_exception_fp_denorm_src 0
		.amdhsa_exception_fp_ieee_div_zero 0
		.amdhsa_exception_fp_ieee_overflow 0
		.amdhsa_exception_fp_ieee_underflow 0
		.amdhsa_exception_fp_ieee_inexact 0
		.amdhsa_exception_int_div_zero 0
	.end_amdhsa_kernel
	.text
.Lfunc_end0:
	.size	fft_rtc_fwd_len924_factors_2_2_3_7_11_wgs_44_tpt_44_halfLds_sp_ip_CI_sbrr_dirReg, .Lfunc_end0-fft_rtc_fwd_len924_factors_2_2_3_7_11_wgs_44_tpt_44_halfLds_sp_ip_CI_sbrr_dirReg
                                        ; -- End function
	.section	.AMDGPU.csdata,"",@progbits
; Kernel info:
; codeLenInByte = 14560
; NumSgprs: 28
; NumVgprs: 119
; ScratchSize: 0
; MemoryBound: 0
; FloatMode: 240
; IeeeMode: 1
; LDSByteSize: 0 bytes/workgroup (compile time only)
; SGPRBlocks: 3
; VGPRBlocks: 29
; NumSGPRsForWavesPerEU: 28
; NumVGPRsForWavesPerEU: 119
; Occupancy: 2
; WaveLimiterHint : 1
; COMPUTE_PGM_RSRC2:SCRATCH_EN: 0
; COMPUTE_PGM_RSRC2:USER_SGPR: 6
; COMPUTE_PGM_RSRC2:TRAP_HANDLER: 0
; COMPUTE_PGM_RSRC2:TGID_X_EN: 1
; COMPUTE_PGM_RSRC2:TGID_Y_EN: 0
; COMPUTE_PGM_RSRC2:TGID_Z_EN: 0
; COMPUTE_PGM_RSRC2:TIDIG_COMP_CNT: 0
	.type	__hip_cuid_ccb80353709def56,@object ; @__hip_cuid_ccb80353709def56
	.section	.bss,"aw",@nobits
	.globl	__hip_cuid_ccb80353709def56
__hip_cuid_ccb80353709def56:
	.byte	0                               ; 0x0
	.size	__hip_cuid_ccb80353709def56, 1

	.ident	"AMD clang version 19.0.0git (https://github.com/RadeonOpenCompute/llvm-project roc-6.4.0 25133 c7fe45cf4b819c5991fe208aaa96edf142730f1d)"
	.section	".note.GNU-stack","",@progbits
	.addrsig
	.addrsig_sym __hip_cuid_ccb80353709def56
	.amdgpu_metadata
---
amdhsa.kernels:
  - .args:
      - .actual_access:  read_only
        .address_space:  global
        .offset:         0
        .size:           8
        .value_kind:     global_buffer
      - .offset:         8
        .size:           8
        .value_kind:     by_value
      - .actual_access:  read_only
        .address_space:  global
        .offset:         16
        .size:           8
        .value_kind:     global_buffer
      - .actual_access:  read_only
        .address_space:  global
        .offset:         24
        .size:           8
        .value_kind:     global_buffer
      - .offset:         32
        .size:           8
        .value_kind:     by_value
      - .actual_access:  read_only
        .address_space:  global
        .offset:         40
        .size:           8
        .value_kind:     global_buffer
      - .actual_access:  read_only
        .address_space:  global
        .offset:         48
        .size:           8
        .value_kind:     global_buffer
      - .offset:         56
        .size:           4
        .value_kind:     by_value
      - .actual_access:  read_only
        .address_space:  global
        .offset:         64
        .size:           8
        .value_kind:     global_buffer
      - .actual_access:  read_only
        .address_space:  global
        .offset:         72
        .size:           8
        .value_kind:     global_buffer
      - .address_space:  global
        .offset:         80
        .size:           8
        .value_kind:     global_buffer
    .group_segment_fixed_size: 0
    .kernarg_segment_align: 8
    .kernarg_segment_size: 88
    .language:       OpenCL C
    .language_version:
      - 2
      - 0
    .max_flat_workgroup_size: 44
    .name:           fft_rtc_fwd_len924_factors_2_2_3_7_11_wgs_44_tpt_44_halfLds_sp_ip_CI_sbrr_dirReg
    .private_segment_fixed_size: 0
    .sgpr_count:     28
    .sgpr_spill_count: 0
    .symbol:         fft_rtc_fwd_len924_factors_2_2_3_7_11_wgs_44_tpt_44_halfLds_sp_ip_CI_sbrr_dirReg.kd
    .uniform_work_group_size: 1
    .uses_dynamic_stack: false
    .vgpr_count:     119
    .vgpr_spill_count: 0
    .wavefront_size: 64
amdhsa.target:   amdgcn-amd-amdhsa--gfx906
amdhsa.version:
  - 1
  - 2
...

	.end_amdgpu_metadata
